;; amdgpu-corpus repo=ROCm/hip-tests kind=compiled arch=gfx1250 opt=O3
	.amdgcn_target "amdgcn-amd-amdhsa--gfx1250"
	.amdhsa_code_object_version 6
	.section	.text._Z8vec_fillIiEvPT_S0_i,"axG",@progbits,_Z8vec_fillIiEvPT_S0_i,comdat
	.protected	_Z8vec_fillIiEvPT_S0_i  ; -- Begin function _Z8vec_fillIiEvPT_S0_i
	.globl	_Z8vec_fillIiEvPT_S0_i
	.p2align	8
	.type	_Z8vec_fillIiEvPT_S0_i,@function
_Z8vec_fillIiEvPT_S0_i:                 ; @_Z8vec_fillIiEvPT_S0_i
; %bb.0:
	s_clause 0x1
	s_load_b32 s3, s[0:1], 0x1c
	s_load_b64 s[4:5], s[0:1], 0x8
	s_bfe_u32 s2, ttmp6, 0x4000c
	s_and_b32 s6, ttmp6, 15
	s_add_co_i32 s2, s2, 1
	s_getreg_b32 s7, hwreg(HW_REG_IB_STS2, 6, 4)
	s_mul_i32 s2, ttmp9, s2
	s_delay_alu instid0(SALU_CYCLE_1)
	s_add_co_i32 s6, s6, s2
	s_cmp_eq_u32 s7, 0
	s_cselect_b32 s2, ttmp9, s6
	s_mov_b32 s6, exec_lo
	s_wait_kmcnt 0x0
	s_and_b32 s3, s3, 0xffff
	s_delay_alu instid0(SALU_CYCLE_1) | instskip(NEXT) | instid1(VALU_DEP_1)
	v_mad_u32 v2, s2, s3, v0
	v_cmpx_gt_i32_e64 s5, v2
	s_cbranch_execz .LBB0_8
; %bb.1:
	s_add_nc_u64 s[6:7], s[0:1], 16
	s_load_b64 s[8:9], s[0:1], 0x0
	s_load_b32 s10, s[6:7], 0x0
	s_wait_xcnt 0x0
	s_mov_b32 s1, -1
	s_wait_kmcnt 0x0
	s_mul_i32 s6, s10, s3
	s_add_co_i32 s2, s2, s10
	s_cvt_f32_u32 s7, s6
	s_mul_i32 s2, s2, s3
	s_delay_alu instid0(SALU_CYCLE_1) | instskip(NEXT) | instid1(SALU_CYCLE_1)
	v_add_nc_u32_e32 v3, s2, v0
	v_rcp_iflag_f32_e32 v1, s7
	s_delay_alu instid0(VALU_DEP_1) | instskip(NEXT) | instid1(TRANS32_DEP_1)
	v_cmp_gt_i32_e32 vcc_lo, s5, v3
	v_readfirstlane_b32 s7, v1
	v_max_i32_e32 v1, s5, v3
	v_add_co_ci_u32_e64 v0, null, s2, v0, vcc_lo
	s_mul_f32 s7, s7, 0x4f7ffffe
	v_sub_nc_u32_e32 v0, v1, v0
	s_delay_alu instid0(SALU_CYCLE_2) | instskip(SKIP_1) | instid1(SALU_CYCLE_2)
	s_cvt_u32_f32 s2, s7
	s_sub_co_i32 s7, 0, s6
	s_mul_i32 s7, s7, s2
	s_delay_alu instid0(SALU_CYCLE_1) | instskip(NEXT) | instid1(SALU_CYCLE_1)
	s_mul_hi_u32 s7, s2, s7
	s_add_co_i32 s2, s2, s7
	s_delay_alu instid0(SALU_CYCLE_1) | instskip(NEXT) | instid1(VALU_DEP_1)
	v_mul_hi_u32 v1, v0, s2
	v_mul_lo_u32 v3, v1, s6
	s_delay_alu instid0(VALU_DEP_1) | instskip(NEXT) | instid1(VALU_DEP_1)
	v_sub_nc_u32_e32 v0, v0, v3
	v_subrev_nc_u32_e32 v4, s6, v0
	v_cmp_le_u32_e64 s2, s6, v0
	s_delay_alu instid0(VALU_DEP_1) | instskip(NEXT) | instid1(VALU_DEP_1)
	v_dual_add_nc_u32 v3, 1, v1 :: v_dual_cndmask_b32 v0, v0, v4, s2
	v_cndmask_b32_e64 v1, v1, v3, s2
	s_delay_alu instid0(VALU_DEP_2) | instskip(NEXT) | instid1(VALU_DEP_2)
	v_cmp_le_u32_e64 s0, s6, v0
	v_add_nc_u32_e32 v3, 1, v1
	s_delay_alu instid0(VALU_DEP_1) | instskip(SKIP_1) | instid1(VALU_DEP_1)
	v_cndmask_b32_e64 v0, v1, v3, s0
	s_mov_b32 s0, exec_lo
	v_add_co_ci_u32_e64 v4, null, 1, v0, vcc_lo
	s_delay_alu instid0(VALU_DEP_1)
	v_cmpx_lt_u32_e32 1, v4
	s_cbranch_execz .LBB0_5
; %bb.2:
	v_dual_add_nc_u32 v3, s6, v2 :: v_dual_bitop2_b32 v5, -2, v4 bitop3:0x40
	s_lshl_b32 s2, s6, 1
	s_mov_b32 s1, s4
	s_mov_b32 s7, s4
	s_delay_alu instid0(VALU_DEP_1)
	v_mov_b32_e32 v6, v5
	v_mov_b64_e32 v[0:1], v[2:3]
	s_mov_b32 s12, s2
	s_mov_b32 s11, 0
.LBB0_3:                                ; =>This Inner Loop Header: Depth=1
	s_delay_alu instid0(VALU_DEP_1) | instskip(NEXT) | instid1(VALU_DEP_2)
	v_mul_lo_u32 v3, v0, s1
	v_mul_lo_u32 v7, v1, s7
	v_add_nc_u32_e32 v6, -2, v6
	s_clause 0x1
	global_store_b32 v0, v3, s[8:9] scale_offset
	global_store_b32 v1, v7, s[8:9] scale_offset
	s_wait_xcnt 0x0
	v_add_nc_u32_e32 v1, s12, v1
	v_cmp_eq_u32_e32 vcc_lo, 0, v6
	v_add_nc_u32_e32 v0, s2, v0
	s_or_b32 s11, vcc_lo, s11
	s_delay_alu instid0(SALU_CYCLE_1)
	s_and_not1_b32 exec_lo, exec_lo, s11
	s_cbranch_execnz .LBB0_3
; %bb.4:
	s_or_b32 exec_lo, exec_lo, s11
	v_mad_u32 v2, v5, s6, v2
	v_cmp_ne_u32_e32 vcc_lo, v4, v5
	s_or_not1_b32 s1, vcc_lo, exec_lo
.LBB0_5:
	s_or_b32 exec_lo, exec_lo, s0
	s_delay_alu instid0(SALU_CYCLE_1)
	s_and_b32 exec_lo, exec_lo, s1
	s_cbranch_execz .LBB0_8
; %bb.6:
	s_delay_alu instid0(VALU_DEP_2)
	v_mul_lo_u32 v4, v2, s4
	v_ashrrev_i32_e32 v3, 31, v2
	s_ashr_i32 s7, s6, 31
	s_mul_i32 s2, s10, s4
	s_lshl_b64 s[0:1], s[6:7], 2
	s_mul_i32 s2, s2, s3
	v_lshl_add_u64 v[0:1], v[2:3], 2, s[8:9]
	s_mov_b32 s3, 0
.LBB0_7:                                ; =>This Inner Loop Header: Depth=1
	v_add_nc_u32_e32 v2, s6, v2
	global_store_b32 v[0:1], v4, off
	s_wait_xcnt 0x0
	v_add_nc_u64_e32 v[0:1], s[0:1], v[0:1]
	v_add_nc_u32_e32 v4, s2, v4
	v_cmp_le_i32_e32 vcc_lo, s5, v2
	s_or_b32 s3, vcc_lo, s3
	s_delay_alu instid0(SALU_CYCLE_1)
	s_and_not1_b32 exec_lo, exec_lo, s3
	s_cbranch_execnz .LBB0_7
.LBB0_8:
	s_endpgm
	.section	.rodata,"a",@progbits
	.p2align	6, 0x0
	.amdhsa_kernel _Z8vec_fillIiEvPT_S0_i
		.amdhsa_group_segment_fixed_size 0
		.amdhsa_private_segment_fixed_size 0
		.amdhsa_kernarg_size 272
		.amdhsa_user_sgpr_count 2
		.amdhsa_user_sgpr_dispatch_ptr 0
		.amdhsa_user_sgpr_queue_ptr 0
		.amdhsa_user_sgpr_kernarg_segment_ptr 1
		.amdhsa_user_sgpr_dispatch_id 0
		.amdhsa_user_sgpr_kernarg_preload_length 0
		.amdhsa_user_sgpr_kernarg_preload_offset 0
		.amdhsa_user_sgpr_private_segment_size 0
		.amdhsa_wavefront_size32 1
		.amdhsa_uses_dynamic_stack 0
		.amdhsa_enable_private_segment 0
		.amdhsa_system_sgpr_workgroup_id_x 1
		.amdhsa_system_sgpr_workgroup_id_y 0
		.amdhsa_system_sgpr_workgroup_id_z 0
		.amdhsa_system_sgpr_workgroup_info 0
		.amdhsa_system_vgpr_workitem_id 0
		.amdhsa_next_free_vgpr 8
		.amdhsa_next_free_sgpr 13
		.amdhsa_named_barrier_count 0
		.amdhsa_reserve_vcc 1
		.amdhsa_float_round_mode_32 0
		.amdhsa_float_round_mode_16_64 0
		.amdhsa_float_denorm_mode_32 3
		.amdhsa_float_denorm_mode_16_64 3
		.amdhsa_fp16_overflow 0
		.amdhsa_memory_ordered 1
		.amdhsa_forward_progress 1
		.amdhsa_inst_pref_size 5
		.amdhsa_round_robin_scheduling 0
		.amdhsa_exception_fp_ieee_invalid_op 0
		.amdhsa_exception_fp_denorm_src 0
		.amdhsa_exception_fp_ieee_div_zero 0
		.amdhsa_exception_fp_ieee_overflow 0
		.amdhsa_exception_fp_ieee_underflow 0
		.amdhsa_exception_fp_ieee_inexact 0
		.amdhsa_exception_int_div_zero 0
	.end_amdhsa_kernel
	.section	.text._Z8vec_fillIiEvPT_S0_i,"axG",@progbits,_Z8vec_fillIiEvPT_S0_i,comdat
.Lfunc_end0:
	.size	_Z8vec_fillIiEvPT_S0_i, .Lfunc_end0-_Z8vec_fillIiEvPT_S0_i
                                        ; -- End function
	.set _Z8vec_fillIiEvPT_S0_i.num_vgpr, 8
	.set _Z8vec_fillIiEvPT_S0_i.num_agpr, 0
	.set _Z8vec_fillIiEvPT_S0_i.numbered_sgpr, 13
	.set _Z8vec_fillIiEvPT_S0_i.num_named_barrier, 0
	.set _Z8vec_fillIiEvPT_S0_i.private_seg_size, 0
	.set _Z8vec_fillIiEvPT_S0_i.uses_vcc, 1
	.set _Z8vec_fillIiEvPT_S0_i.uses_flat_scratch, 0
	.set _Z8vec_fillIiEvPT_S0_i.has_dyn_sized_stack, 0
	.set _Z8vec_fillIiEvPT_S0_i.has_recursion, 0
	.set _Z8vec_fillIiEvPT_S0_i.has_indirect_call, 0
	.section	.AMDGPU.csdata,"",@progbits
; Kernel info:
; codeLenInByte = 600
; TotalNumSgprs: 15
; NumVgprs: 8
; ScratchSize: 0
; MemoryBound: 0
; FloatMode: 240
; IeeeMode: 1
; LDSByteSize: 0 bytes/workgroup (compile time only)
; SGPRBlocks: 0
; VGPRBlocks: 0
; NumSGPRsForWavesPerEU: 15
; NumVGPRsForWavesPerEU: 8
; NamedBarCnt: 0
; Occupancy: 16
; WaveLimiterHint : 0
; COMPUTE_PGM_RSRC2:SCRATCH_EN: 0
; COMPUTE_PGM_RSRC2:USER_SGPR: 2
; COMPUTE_PGM_RSRC2:TRAP_HANDLER: 0
; COMPUTE_PGM_RSRC2:TGID_X_EN: 1
; COMPUTE_PGM_RSRC2:TGID_Y_EN: 0
; COMPUTE_PGM_RSRC2:TGID_Z_EN: 0
; COMPUTE_PGM_RSRC2:TIDIG_COMP_CNT: 0
	.section	.text._Z10vec_verifyIiEvPT_S0_i,"axG",@progbits,_Z10vec_verifyIiEvPT_S0_i,comdat
	.protected	_Z10vec_verifyIiEvPT_S0_i ; -- Begin function _Z10vec_verifyIiEvPT_S0_i
	.globl	_Z10vec_verifyIiEvPT_S0_i
	.p2align	8
	.type	_Z10vec_verifyIiEvPT_S0_i,@function
_Z10vec_verifyIiEvPT_S0_i:              ; @_Z10vec_verifyIiEvPT_S0_i
; %bb.0:
	s_clause 0x1
	s_load_b32 s4, s[0:1], 0x1c
	s_load_b64 s[2:3], s[0:1], 0x8
	s_bfe_u32 s5, ttmp6, 0x4000c
	s_and_b32 s6, ttmp6, 15
	s_add_co_i32 s5, s5, 1
	s_getreg_b32 s7, hwreg(HW_REG_IB_STS2, 6, 4)
	s_mul_i32 s8, ttmp9, s5
	s_delay_alu instid0(SALU_CYCLE_1)
	s_add_co_i32 s6, s6, s8
	s_wait_kmcnt 0x0
	s_and_b32 s5, s4, 0xffff
	s_cmp_eq_u32 s7, 0
	s_cselect_b32 s4, ttmp9, s6
	s_mov_b32 s6, exec_lo
	v_mad_u32 v40, s4, s5, v0
	s_mov_b32 s4, 0
	s_delay_alu instid0(VALU_DEP_1)
	v_cmpx_gt_i32_e64 s3, v40
	s_cbranch_execz .LBB1_215
; %bb.1:
	s_add_nc_u64 s[8:9], s[0:1], 16
	v_mbcnt_lo_u32_b32 v41, -1, 0
	s_load_b32 s25, s[8:9], 0x0
	s_load_b64 s[10:11], s[0:1], 0x0
	v_mov_b64_e32 v[2:3], 0x100000002
	s_get_pc_i64 s[12:13]
	s_add_nc_u64 s[12:13], s[12:13], .str.1@rel64+4
	v_dual_mov_b32 v1, 0 :: v_dual_mov_b32 v4, 33
	v_lshlrev_b32_e32 v36, 6, v41
	s_cmp_lg_u64 s[12:13], 0
	s_mov_b32 s26, 0
	s_cselect_b32 s24, -1, 0
	s_wait_kmcnt 0x0
	s_mul_i32 s25, s25, s5
	s_branch .LBB1_3
.LBB1_2:                                ;   in Loop: Header=BB1_3 Depth=1
	s_or_b32 exec_lo, exec_lo, s27
	v_add_nc_u32_e32 v40, s25, v40
	s_delay_alu instid0(VALU_DEP_1) | instskip(SKIP_1) | instid1(SALU_CYCLE_1)
	v_cmp_le_i32_e32 vcc_lo, s3, v40
	s_or_b32 s26, vcc_lo, s26
	s_and_not1_b32 exec_lo, exec_lo, s26
	s_cbranch_execz .LBB1_215
.LBB1_3:                                ; =>This Loop Header: Depth=1
                                        ;     Child Loop BB1_7 Depth 2
                                        ;     Child Loop BB1_15 Depth 2
	;; [unrolled: 1-line block ×9, first 2 shown]
                                        ;       Child Loop BB1_36 Depth 3
                                        ;       Child Loop BB1_43 Depth 3
	;; [unrolled: 1-line block ×11, first 2 shown]
                                        ;     Child Loop BB1_140 Depth 2
                                        ;     Child Loop BB1_148 Depth 2
	;; [unrolled: 1-line block ×12, first 2 shown]
	global_load_b32 v12, v40, s[10:11] scale_offset
	v_mul_lo_u32 v8, v40, s2
	s_mov_b32 s27, exec_lo
	s_wait_loadcnt 0x0
	s_wait_xcnt 0x0
	s_delay_alu instid0(VALU_DEP_1)
	v_cmpx_ne_u32_e64 v12, v8
	s_cbranch_execz .LBB1_2
; %bb.4:                                ;   in Loop: Header=BB1_3 Depth=1
	s_load_b64 s[14:15], s[8:9], 0x50
	v_readfirstlane_b32 s0, v41
	v_mov_b64_e32 v[6:7], 0
	s_delay_alu instid0(VALU_DEP_2)
	v_cmp_eq_u32_e64 s0, s0, v41
	s_and_saveexec_b32 s1, s0
	s_cbranch_execz .LBB1_10
; %bb.5:                                ;   in Loop: Header=BB1_3 Depth=1
	s_wait_kmcnt 0x0
	global_load_b64 v[16:17], v1, s[14:15] offset:24 scope:SCOPE_SYS
	s_wait_loadcnt 0x0
	global_inv scope:SCOPE_SYS
	s_clause 0x1
	global_load_b64 v[6:7], v1, s[14:15] offset:40
	global_load_b64 v[10:11], v1, s[14:15]
	s_mov_b32 s5, exec_lo
	s_wait_loadcnt 0x1
	v_and_b32_e32 v6, v6, v16
	v_and_b32_e32 v7, v7, v17
	s_delay_alu instid0(VALU_DEP_1) | instskip(SKIP_1) | instid1(VALU_DEP_1)
	v_mul_u64_e32 v[6:7], 24, v[6:7]
	s_wait_loadcnt 0x0
	v_add_nc_u64_e32 v[6:7], v[10:11], v[6:7]
	global_load_b64 v[14:15], v[6:7], off scope:SCOPE_SYS
	s_wait_xcnt 0x0
	s_wait_loadcnt 0x0
	global_atomic_cmpswap_b64 v[6:7], v1, v[14:17], s[14:15] offset:24 th:TH_ATOMIC_RETURN scope:SCOPE_SYS
	s_wait_loadcnt 0x0
	global_inv scope:SCOPE_SYS
	s_wait_xcnt 0x0
	v_cmpx_ne_u64_e64 v[6:7], v[16:17]
	s_cbranch_execz .LBB1_9
; %bb.6:                                ;   in Loop: Header=BB1_3 Depth=1
	s_mov_b32 s6, 0
.LBB1_7:                                ;   Parent Loop BB1_3 Depth=1
                                        ; =>  This Inner Loop Header: Depth=2
	s_sleep 1
	s_clause 0x1
	global_load_b64 v[10:11], v1, s[14:15] offset:40
	global_load_b64 v[14:15], v1, s[14:15]
	v_mov_b64_e32 v[16:17], v[6:7]
	s_wait_loadcnt 0x1
	s_delay_alu instid0(VALU_DEP_1) | instskip(SKIP_1) | instid1(VALU_DEP_1)
	v_and_b32_e32 v0, v10, v16
	s_wait_loadcnt 0x0
	v_mad_nc_u64_u32 v[6:7], v0, 24, v[14:15]
	s_delay_alu instid0(VALU_DEP_3) | instskip(NEXT) | instid1(VALU_DEP_1)
	v_and_b32_e32 v0, v11, v17
	v_mad_u32 v7, v0, 24, v7
	global_load_b64 v[14:15], v[6:7], off scope:SCOPE_SYS
	s_wait_xcnt 0x0
	s_wait_loadcnt 0x0
	global_atomic_cmpswap_b64 v[6:7], v1, v[14:17], s[14:15] offset:24 th:TH_ATOMIC_RETURN scope:SCOPE_SYS
	s_wait_loadcnt 0x0
	global_inv scope:SCOPE_SYS
	v_cmp_eq_u64_e32 vcc_lo, v[6:7], v[16:17]
	s_or_b32 s6, vcc_lo, s6
	s_wait_xcnt 0x0
	s_and_not1_b32 exec_lo, exec_lo, s6
	s_cbranch_execnz .LBB1_7
; %bb.8:                                ;   in Loop: Header=BB1_3 Depth=1
	s_or_b32 exec_lo, exec_lo, s6
.LBB1_9:                                ;   in Loop: Header=BB1_3 Depth=1
	s_delay_alu instid0(SALU_CYCLE_1)
	s_or_b32 exec_lo, exec_lo, s5
.LBB1_10:                               ;   in Loop: Header=BB1_3 Depth=1
	s_delay_alu instid0(SALU_CYCLE_1)
	s_or_b32 exec_lo, exec_lo, s1
	s_wait_kmcnt 0x0
	s_clause 0x1
	global_load_b64 v[10:11], v1, s[14:15] offset:40
	global_load_b128 v[14:17], v1, s[14:15]
	v_readfirstlane_b32 s16, v6
	v_readfirstlane_b32 s17, v7
	s_mov_b32 s1, exec_lo
	s_wait_loadcnt 0x1
	v_and_b32_e32 v6, s16, v10
	v_and_b32_e32 v7, s17, v11
	s_delay_alu instid0(VALU_DEP_1) | instskip(SKIP_1) | instid1(VALU_DEP_1)
	v_mul_u64_e32 v[10:11], 24, v[6:7]
	s_wait_loadcnt 0x0
	v_add_nc_u64_e32 v[10:11], v[14:15], v[10:11]
	s_wait_xcnt 0x0
	s_and_saveexec_b32 s5, s0
	s_cbranch_execz .LBB1_12
; %bb.11:                               ;   in Loop: Header=BB1_3 Depth=1
	v_mov_b32_e32 v0, s1
	global_store_b128 v[10:11], v[0:3], off offset:8
.LBB1_12:                               ;   in Loop: Header=BB1_3 Depth=1
	s_wait_xcnt 0x0
	s_or_b32 exec_lo, exec_lo, s5
	v_lshlrev_b64_e32 v[6:7], 12, v[6:7]
	s_mov_b32 s6, s4
	s_mov_b32 s7, s4
	;; [unrolled: 1-line block ×3, first 2 shown]
	v_mov_b64_e32 v[22:23], s[6:7]
	v_mov_b64_e32 v[20:21], s[4:5]
	v_mov_b32_e32 v5, v1
	v_add_nc_u64_e32 v[18:19], v[16:17], v[6:7]
	v_dual_mov_b32 v6, v1 :: v_dual_mov_b32 v7, v1
	s_delay_alu instid0(VALU_DEP_2) | instskip(NEXT) | instid1(VALU_DEP_3)
	v_readfirstlane_b32 s18, v18
	v_readfirstlane_b32 s19, v19
	s_clause 0x3
	global_store_b128 v36, v[4:7], s[18:19]
	global_store_b128 v36, v[20:23], s[18:19] offset:16
	global_store_b128 v36, v[20:23], s[18:19] offset:32
	;; [unrolled: 1-line block ×3, first 2 shown]
	s_wait_xcnt 0x0
	s_and_saveexec_b32 s1, s0
	s_cbranch_execz .LBB1_20
; %bb.13:                               ;   in Loop: Header=BB1_3 Depth=1
	s_clause 0x1
	global_load_b64 v[22:23], v1, s[14:15] offset:32 scope:SCOPE_SYS
	global_load_b64 v[6:7], v1, s[14:15] offset:40
	s_mov_b32 s5, exec_lo
	v_dual_mov_b32 v20, s16 :: v_dual_mov_b32 v21, s17
	s_wait_loadcnt 0x0
	v_and_b32_e32 v7, s17, v7
	v_and_b32_e32 v6, s16, v6
	s_delay_alu instid0(VALU_DEP_1) | instskip(NEXT) | instid1(VALU_DEP_1)
	v_mul_u64_e32 v[6:7], 24, v[6:7]
	v_add_nc_u64_e32 v[6:7], v[14:15], v[6:7]
	global_store_b64 v[6:7], v[22:23], off
	global_wb scope:SCOPE_SYS
	s_wait_storecnt 0x0
	s_wait_xcnt 0x0
	global_atomic_cmpswap_b64 v[16:17], v1, v[20:23], s[14:15] offset:32 th:TH_ATOMIC_RETURN scope:SCOPE_SYS
	s_wait_loadcnt 0x0
	v_cmpx_ne_u64_e64 v[16:17], v[22:23]
	s_cbranch_execz .LBB1_16
; %bb.14:                               ;   in Loop: Header=BB1_3 Depth=1
	s_mov_b32 s6, 0
.LBB1_15:                               ;   Parent Loop BB1_3 Depth=1
                                        ; =>  This Inner Loop Header: Depth=2
	v_dual_mov_b32 v14, s16 :: v_dual_mov_b32 v15, s17
	s_sleep 1
	global_store_b64 v[6:7], v[16:17], off
	global_wb scope:SCOPE_SYS
	s_wait_storecnt 0x0
	s_wait_xcnt 0x0
	global_atomic_cmpswap_b64 v[14:15], v1, v[14:17], s[14:15] offset:32 th:TH_ATOMIC_RETURN scope:SCOPE_SYS
	s_wait_loadcnt 0x0
	v_cmp_eq_u64_e32 vcc_lo, v[14:15], v[16:17]
	v_mov_b64_e32 v[16:17], v[14:15]
	s_or_b32 s6, vcc_lo, s6
	s_delay_alu instid0(SALU_CYCLE_1)
	s_and_not1_b32 exec_lo, exec_lo, s6
	s_cbranch_execnz .LBB1_15
.LBB1_16:                               ;   in Loop: Header=BB1_3 Depth=1
	s_or_b32 exec_lo, exec_lo, s5
	global_load_b64 v[6:7], v1, s[14:15] offset:16
	s_mov_b32 s6, exec_lo
	s_mov_b32 s5, exec_lo
	v_mbcnt_lo_u32_b32 v0, s6, 0
	s_wait_xcnt 0x0
	s_delay_alu instid0(VALU_DEP_1)
	v_cmpx_eq_u32_e32 0, v0
	s_cbranch_execz .LBB1_18
; %bb.17:                               ;   in Loop: Header=BB1_3 Depth=1
	s_bcnt1_i32_b32 s6, s6
	s_delay_alu instid0(SALU_CYCLE_1)
	v_mov_b32_e32 v0, s6
	global_wb scope:SCOPE_SYS
	s_wait_loadcnt 0x0
	s_wait_storecnt 0x0
	global_atomic_add_u64 v[6:7], v[0:1], off offset:8 scope:SCOPE_SYS
.LBB1_18:                               ;   in Loop: Header=BB1_3 Depth=1
	s_wait_xcnt 0x0
	s_or_b32 exec_lo, exec_lo, s5
	s_wait_loadcnt 0x0
	global_load_b64 v[14:15], v[6:7], off offset:16
	s_wait_loadcnt 0x0
	v_cmp_eq_u64_e32 vcc_lo, 0, v[14:15]
	s_cbranch_vccnz .LBB1_20
; %bb.19:                               ;   in Loop: Header=BB1_3 Depth=1
	global_load_b32 v0, v[6:7], off offset:24
	s_wait_loadcnt 0x0
	v_readfirstlane_b32 s5, v0
	global_wb scope:SCOPE_SYS
	s_wait_storecnt 0x0
	s_wait_xcnt 0x0
	global_store_b64 v[14:15], v[0:1], off scope:SCOPE_SYS
	s_and_b32 m0, s5, 0xffffff
	s_sendmsg sendmsg(MSG_INTERRUPT)
.LBB1_20:                               ;   in Loop: Header=BB1_3 Depth=1
	s_wait_xcnt 0x0
	s_or_b32 exec_lo, exec_lo, s1
	v_mov_b32_e32 v37, v1
	s_delay_alu instid0(VALU_DEP_1)
	v_add_nc_u64_e32 v[6:7], v[18:19], v[36:37]
	s_branch .LBB1_24
.LBB1_21:                               ;   in Loop: Header=BB1_24 Depth=2
	s_wait_xcnt 0x0
	s_or_b32 exec_lo, exec_lo, s1
	s_delay_alu instid0(VALU_DEP_1)
	v_readfirstlane_b32 s1, v0
	s_cmp_eq_u32 s1, 0
	s_cbranch_scc1 .LBB1_23
; %bb.22:                               ;   in Loop: Header=BB1_24 Depth=2
	s_sleep 1
	s_cbranch_execnz .LBB1_24
	s_branch .LBB1_26
.LBB1_23:                               ;   in Loop: Header=BB1_3 Depth=1
	s_branch .LBB1_26
.LBB1_24:                               ;   Parent Loop BB1_3 Depth=1
                                        ; =>  This Inner Loop Header: Depth=2
	v_mov_b32_e32 v0, 1
	s_and_saveexec_b32 s1, s0
	s_cbranch_execz .LBB1_21
; %bb.25:                               ;   in Loop: Header=BB1_24 Depth=2
	global_load_b32 v0, v[10:11], off offset:20 scope:SCOPE_SYS
	s_wait_loadcnt 0x0
	global_inv scope:SCOPE_SYS
	v_and_b32_e32 v0, 1, v0
	s_branch .LBB1_21
.LBB1_26:                               ;   in Loop: Header=BB1_3 Depth=1
	global_load_b64 v[14:15], v[6:7], off
	s_wait_xcnt 0x0
	s_and_saveexec_b32 s5, s0
	s_cbranch_execz .LBB1_30
; %bb.27:                               ;   in Loop: Header=BB1_3 Depth=1
	s_clause 0x2
	global_load_b64 v[6:7], v1, s[14:15] offset:40
	global_load_b64 v[20:21], v1, s[14:15] offset:24 scope:SCOPE_SYS
	global_load_b64 v[10:11], v1, s[14:15]
	s_wait_loadcnt 0x2
	v_readfirstlane_b32 s6, v6
	v_readfirstlane_b32 s7, v7
	s_add_nc_u64 s[0:1], s[6:7], 1
	s_delay_alu instid0(SALU_CYCLE_1) | instskip(NEXT) | instid1(SALU_CYCLE_1)
	s_add_nc_u64 s[16:17], s[0:1], s[16:17]
	s_cmp_eq_u64 s[16:17], 0
	s_cselect_b32 s1, s1, s17
	s_cselect_b32 s0, s0, s16
	s_delay_alu instid0(SALU_CYCLE_1) | instskip(SKIP_1) | instid1(SALU_CYCLE_1)
	v_dual_mov_b32 v19, s1 :: v_dual_mov_b32 v18, s0
	s_and_b64 s[6:7], s[0:1], s[6:7]
	s_mul_u64 s[6:7], s[6:7], 24
	s_wait_loadcnt 0x0
	v_add_nc_u64_e32 v[6:7], s[6:7], v[10:11]
	global_store_b64 v[6:7], v[20:21], off
	global_wb scope:SCOPE_SYS
	s_wait_storecnt 0x0
	s_wait_xcnt 0x0
	global_atomic_cmpswap_b64 v[18:19], v1, v[18:21], s[14:15] offset:24 th:TH_ATOMIC_RETURN scope:SCOPE_SYS
	s_wait_loadcnt 0x0
	v_cmp_ne_u64_e32 vcc_lo, v[18:19], v[20:21]
	s_and_b32 exec_lo, exec_lo, vcc_lo
	s_cbranch_execz .LBB1_30
; %bb.28:                               ;   in Loop: Header=BB1_3 Depth=1
	s_mov_b32 s6, 0
.LBB1_29:                               ;   Parent Loop BB1_3 Depth=1
                                        ; =>  This Inner Loop Header: Depth=2
	v_dual_mov_b32 v16, s0 :: v_dual_mov_b32 v17, s1
	s_sleep 1
	global_store_b64 v[6:7], v[18:19], off
	global_wb scope:SCOPE_SYS
	s_wait_storecnt 0x0
	s_wait_xcnt 0x0
	global_atomic_cmpswap_b64 v[10:11], v1, v[16:19], s[14:15] offset:24 th:TH_ATOMIC_RETURN scope:SCOPE_SYS
	s_wait_loadcnt 0x0
	v_cmp_eq_u64_e32 vcc_lo, v[10:11], v[18:19]
	v_mov_b64_e32 v[18:19], v[10:11]
	s_or_b32 s6, vcc_lo, s6
	s_delay_alu instid0(SALU_CYCLE_1)
	s_and_not1_b32 exec_lo, exec_lo, s6
	s_cbranch_execnz .LBB1_29
.LBB1_30:                               ;   in Loop: Header=BB1_3 Depth=1
	s_or_b32 exec_lo, exec_lo, s5
	s_delay_alu instid0(SALU_CYCLE_1)
	s_and_b32 vcc_lo, exec_lo, s24
	s_cbranch_vccz .LBB1_109
; %bb.31:                               ;   in Loop: Header=BB1_3 Depth=1
	s_wait_loadcnt 0x0
	v_dual_mov_b32 v17, v15 :: v_dual_bitop2_b32 v6, 2, v14 bitop3:0x40
	v_and_b32_e32 v16, -3, v14
	s_mov_b64 s[6:7], 35
	s_mov_b64 s[16:17], s[12:13]
	s_branch .LBB1_33
.LBB1_32:                               ;   in Loop: Header=BB1_33 Depth=2
	s_or_b32 exec_lo, exec_lo, s5
	s_sub_nc_u64 s[6:7], s[6:7], s[18:19]
	s_add_nc_u64 s[16:17], s[16:17], s[18:19]
	s_cmp_lg_u64 s[6:7], 0
	s_cbranch_scc0 .LBB1_108
.LBB1_33:                               ;   Parent Loop BB1_3 Depth=1
                                        ; =>  This Loop Header: Depth=2
                                        ;       Child Loop BB1_36 Depth 3
                                        ;       Child Loop BB1_43 Depth 3
                                        ;       Child Loop BB1_50 Depth 3
                                        ;       Child Loop BB1_57 Depth 3
                                        ;       Child Loop BB1_64 Depth 3
                                        ;       Child Loop BB1_71 Depth 3
                                        ;       Child Loop BB1_78 Depth 3
                                        ;       Child Loop BB1_85 Depth 3
                                        ;       Child Loop BB1_93 Depth 3
                                        ;       Child Loop BB1_102 Depth 3
                                        ;       Child Loop BB1_107 Depth 3
	v_min_u64 v[10:11], s[6:7], 56
	v_cmp_gt_u64_e64 s0, s[6:7], 7
	s_and_b32 vcc_lo, exec_lo, s0
	v_readfirstlane_b32 s18, v10
	v_readfirstlane_b32 s19, v11
	s_cbranch_vccnz .LBB1_38
; %bb.34:                               ;   in Loop: Header=BB1_33 Depth=2
	v_mov_b64_e32 v[18:19], 0
	s_cmp_eq_u64 s[6:7], 0
	s_cbranch_scc1 .LBB1_37
; %bb.35:                               ;   in Loop: Header=BB1_33 Depth=2
	s_mov_b64 s[0:1], 0
	s_mov_b64 s[20:21], 0
.LBB1_36:                               ;   Parent Loop BB1_3 Depth=1
                                        ;     Parent Loop BB1_33 Depth=2
                                        ; =>    This Inner Loop Header: Depth=3
	s_wait_xcnt 0x0
	s_add_nc_u64 s[22:23], s[16:17], s[20:21]
	s_add_nc_u64 s[20:21], s[20:21], 1
	global_load_u8 v0, v1, s[22:23]
	s_cmp_lg_u32 s18, s20
	s_wait_loadcnt 0x0
	v_and_b32_e32 v0, 0xffff, v0
	s_delay_alu instid0(VALU_DEP_1) | instskip(SKIP_1) | instid1(VALU_DEP_1)
	v_lshlrev_b64_e32 v[10:11], s0, v[0:1]
	s_add_nc_u64 s[0:1], s[0:1], 8
	v_or_b32_e32 v18, v10, v18
	s_delay_alu instid0(VALU_DEP_2)
	v_or_b32_e32 v19, v11, v19
	s_cbranch_scc1 .LBB1_36
.LBB1_37:                               ;   in Loop: Header=BB1_33 Depth=2
	s_mov_b64 s[0:1], s[16:17]
	s_mov_b32 s5, 0
	s_cbranch_execz .LBB1_39
	s_branch .LBB1_40
.LBB1_38:                               ;   in Loop: Header=BB1_33 Depth=2
	s_add_nc_u64 s[0:1], s[16:17], 8
	s_mov_b32 s5, 0
.LBB1_39:                               ;   in Loop: Header=BB1_33 Depth=2
	global_load_b64 v[18:19], v1, s[16:17]
	s_add_co_i32 s5, s18, -8
.LBB1_40:                               ;   in Loop: Header=BB1_33 Depth=2
	s_delay_alu instid0(SALU_CYCLE_1)
	s_cmp_gt_u32 s5, 7
	s_cbranch_scc1 .LBB1_45
; %bb.41:                               ;   in Loop: Header=BB1_33 Depth=2
	v_mov_b64_e32 v[20:21], 0
	s_cmp_eq_u32 s5, 0
	s_cbranch_scc1 .LBB1_44
; %bb.42:                               ;   in Loop: Header=BB1_33 Depth=2
	s_mov_b64 s[20:21], 0
	s_wait_xcnt 0x0
	s_mov_b64 s[22:23], 0
.LBB1_43:                               ;   Parent Loop BB1_3 Depth=1
                                        ;     Parent Loop BB1_33 Depth=2
                                        ; =>    This Inner Loop Header: Depth=3
	s_wait_xcnt 0x0
	s_add_nc_u64 s[28:29], s[0:1], s[22:23]
	s_add_nc_u64 s[22:23], s[22:23], 1
	global_load_u8 v0, v1, s[28:29]
	s_cmp_lg_u32 s5, s22
	s_wait_loadcnt 0x0
	v_and_b32_e32 v0, 0xffff, v0
	s_delay_alu instid0(VALU_DEP_1) | instskip(SKIP_1) | instid1(VALU_DEP_1)
	v_lshlrev_b64_e32 v[10:11], s20, v[0:1]
	s_add_nc_u64 s[20:21], s[20:21], 8
	v_or_b32_e32 v20, v10, v20
	s_delay_alu instid0(VALU_DEP_2)
	v_or_b32_e32 v21, v11, v21
	s_cbranch_scc1 .LBB1_43
.LBB1_44:                               ;   in Loop: Header=BB1_33 Depth=2
	s_wait_xcnt 0x0
	s_mov_b64 s[20:21], s[0:1]
	s_mov_b32 s28, 0
	s_cbranch_execz .LBB1_46
	s_branch .LBB1_47
.LBB1_45:                               ;   in Loop: Header=BB1_33 Depth=2
	s_add_nc_u64 s[20:21], s[0:1], 8
	s_wait_xcnt 0x0
                                        ; implicit-def: $vgpr20_vgpr21
	s_mov_b32 s28, 0
.LBB1_46:                               ;   in Loop: Header=BB1_33 Depth=2
	global_load_b64 v[20:21], v1, s[0:1]
	s_add_co_i32 s28, s5, -8
.LBB1_47:                               ;   in Loop: Header=BB1_33 Depth=2
	s_delay_alu instid0(SALU_CYCLE_1)
	s_cmp_gt_u32 s28, 7
	s_cbranch_scc1 .LBB1_52
; %bb.48:                               ;   in Loop: Header=BB1_33 Depth=2
	v_mov_b64_e32 v[22:23], 0
	s_cmp_eq_u32 s28, 0
	s_cbranch_scc1 .LBB1_51
; %bb.49:                               ;   in Loop: Header=BB1_33 Depth=2
	s_wait_xcnt 0x0
	s_mov_b64 s[0:1], 0
	s_mov_b64 s[22:23], 0
.LBB1_50:                               ;   Parent Loop BB1_3 Depth=1
                                        ;     Parent Loop BB1_33 Depth=2
                                        ; =>    This Inner Loop Header: Depth=3
	s_wait_xcnt 0x0
	s_add_nc_u64 s[30:31], s[20:21], s[22:23]
	s_add_nc_u64 s[22:23], s[22:23], 1
	global_load_u8 v0, v1, s[30:31]
	s_cmp_lg_u32 s28, s22
	s_wait_loadcnt 0x0
	v_and_b32_e32 v0, 0xffff, v0
	s_delay_alu instid0(VALU_DEP_1) | instskip(SKIP_1) | instid1(VALU_DEP_1)
	v_lshlrev_b64_e32 v[10:11], s0, v[0:1]
	s_add_nc_u64 s[0:1], s[0:1], 8
	v_or_b32_e32 v22, v10, v22
	s_delay_alu instid0(VALU_DEP_2)
	v_or_b32_e32 v23, v11, v23
	s_cbranch_scc1 .LBB1_50
.LBB1_51:                               ;   in Loop: Header=BB1_33 Depth=2
	s_wait_xcnt 0x0
	s_mov_b64 s[0:1], s[20:21]
	s_mov_b32 s5, 0
	s_cbranch_execz .LBB1_53
	s_branch .LBB1_54
.LBB1_52:                               ;   in Loop: Header=BB1_33 Depth=2
	s_wait_xcnt 0x0
	s_add_nc_u64 s[0:1], s[20:21], 8
	s_mov_b32 s5, 0
.LBB1_53:                               ;   in Loop: Header=BB1_33 Depth=2
	global_load_b64 v[22:23], v1, s[20:21]
	s_add_co_i32 s5, s28, -8
.LBB1_54:                               ;   in Loop: Header=BB1_33 Depth=2
	s_delay_alu instid0(SALU_CYCLE_1)
	s_cmp_gt_u32 s5, 7
	s_cbranch_scc1 .LBB1_59
; %bb.55:                               ;   in Loop: Header=BB1_33 Depth=2
	v_mov_b64_e32 v[24:25], 0
	s_cmp_eq_u32 s5, 0
	s_cbranch_scc1 .LBB1_58
; %bb.56:                               ;   in Loop: Header=BB1_33 Depth=2
	s_wait_xcnt 0x0
	s_mov_b64 s[20:21], 0
	s_mov_b64 s[22:23], 0
.LBB1_57:                               ;   Parent Loop BB1_3 Depth=1
                                        ;     Parent Loop BB1_33 Depth=2
                                        ; =>    This Inner Loop Header: Depth=3
	s_wait_xcnt 0x0
	s_add_nc_u64 s[28:29], s[0:1], s[22:23]
	s_add_nc_u64 s[22:23], s[22:23], 1
	global_load_u8 v0, v1, s[28:29]
	s_cmp_lg_u32 s5, s22
	s_wait_loadcnt 0x0
	v_and_b32_e32 v0, 0xffff, v0
	s_delay_alu instid0(VALU_DEP_1) | instskip(SKIP_1) | instid1(VALU_DEP_1)
	v_lshlrev_b64_e32 v[10:11], s20, v[0:1]
	s_add_nc_u64 s[20:21], s[20:21], 8
	v_or_b32_e32 v24, v10, v24
	s_delay_alu instid0(VALU_DEP_2)
	v_or_b32_e32 v25, v11, v25
	s_cbranch_scc1 .LBB1_57
.LBB1_58:                               ;   in Loop: Header=BB1_33 Depth=2
	s_wait_xcnt 0x0
	s_mov_b64 s[20:21], s[0:1]
	s_mov_b32 s28, 0
	s_cbranch_execz .LBB1_60
	s_branch .LBB1_61
.LBB1_59:                               ;   in Loop: Header=BB1_33 Depth=2
	s_wait_xcnt 0x0
	s_add_nc_u64 s[20:21], s[0:1], 8
                                        ; implicit-def: $vgpr24_vgpr25
	s_mov_b32 s28, 0
.LBB1_60:                               ;   in Loop: Header=BB1_33 Depth=2
	global_load_b64 v[24:25], v1, s[0:1]
	s_add_co_i32 s28, s5, -8
.LBB1_61:                               ;   in Loop: Header=BB1_33 Depth=2
	s_delay_alu instid0(SALU_CYCLE_1)
	s_cmp_gt_u32 s28, 7
	s_cbranch_scc1 .LBB1_66
; %bb.62:                               ;   in Loop: Header=BB1_33 Depth=2
	v_mov_b64_e32 v[26:27], 0
	s_cmp_eq_u32 s28, 0
	s_cbranch_scc1 .LBB1_65
; %bb.63:                               ;   in Loop: Header=BB1_33 Depth=2
	s_wait_xcnt 0x0
	s_mov_b64 s[0:1], 0
	s_mov_b64 s[22:23], 0
.LBB1_64:                               ;   Parent Loop BB1_3 Depth=1
                                        ;     Parent Loop BB1_33 Depth=2
                                        ; =>    This Inner Loop Header: Depth=3
	s_wait_xcnt 0x0
	s_add_nc_u64 s[30:31], s[20:21], s[22:23]
	s_add_nc_u64 s[22:23], s[22:23], 1
	global_load_u8 v0, v1, s[30:31]
	s_cmp_lg_u32 s28, s22
	s_wait_loadcnt 0x0
	v_and_b32_e32 v0, 0xffff, v0
	s_delay_alu instid0(VALU_DEP_1) | instskip(SKIP_1) | instid1(VALU_DEP_1)
	v_lshlrev_b64_e32 v[10:11], s0, v[0:1]
	s_add_nc_u64 s[0:1], s[0:1], 8
	v_or_b32_e32 v26, v10, v26
	s_delay_alu instid0(VALU_DEP_2)
	v_or_b32_e32 v27, v11, v27
	s_cbranch_scc1 .LBB1_64
.LBB1_65:                               ;   in Loop: Header=BB1_33 Depth=2
	s_wait_xcnt 0x0
	s_mov_b64 s[0:1], s[20:21]
	s_mov_b32 s5, 0
	s_cbranch_execz .LBB1_67
	s_branch .LBB1_68
.LBB1_66:                               ;   in Loop: Header=BB1_33 Depth=2
	s_wait_xcnt 0x0
	s_add_nc_u64 s[0:1], s[20:21], 8
	s_mov_b32 s5, 0
.LBB1_67:                               ;   in Loop: Header=BB1_33 Depth=2
	global_load_b64 v[26:27], v1, s[20:21]
	s_add_co_i32 s5, s28, -8
.LBB1_68:                               ;   in Loop: Header=BB1_33 Depth=2
	s_delay_alu instid0(SALU_CYCLE_1)
	s_cmp_gt_u32 s5, 7
	s_cbranch_scc1 .LBB1_73
; %bb.69:                               ;   in Loop: Header=BB1_33 Depth=2
	v_mov_b64_e32 v[28:29], 0
	s_cmp_eq_u32 s5, 0
	s_cbranch_scc1 .LBB1_72
; %bb.70:                               ;   in Loop: Header=BB1_33 Depth=2
	s_wait_xcnt 0x0
	s_mov_b64 s[20:21], 0
	s_mov_b64 s[22:23], 0
.LBB1_71:                               ;   Parent Loop BB1_3 Depth=1
                                        ;     Parent Loop BB1_33 Depth=2
                                        ; =>    This Inner Loop Header: Depth=3
	s_wait_xcnt 0x0
	s_add_nc_u64 s[28:29], s[0:1], s[22:23]
	s_add_nc_u64 s[22:23], s[22:23], 1
	global_load_u8 v0, v1, s[28:29]
	s_cmp_lg_u32 s5, s22
	s_wait_loadcnt 0x0
	v_and_b32_e32 v0, 0xffff, v0
	s_delay_alu instid0(VALU_DEP_1) | instskip(SKIP_1) | instid1(VALU_DEP_1)
	v_lshlrev_b64_e32 v[10:11], s20, v[0:1]
	s_add_nc_u64 s[20:21], s[20:21], 8
	v_or_b32_e32 v28, v10, v28
	s_delay_alu instid0(VALU_DEP_2)
	v_or_b32_e32 v29, v11, v29
	s_cbranch_scc1 .LBB1_71
.LBB1_72:                               ;   in Loop: Header=BB1_33 Depth=2
	s_wait_xcnt 0x0
	s_mov_b64 s[20:21], s[0:1]
	s_mov_b32 s28, 0
	s_cbranch_execz .LBB1_74
	s_branch .LBB1_75
.LBB1_73:                               ;   in Loop: Header=BB1_33 Depth=2
	s_wait_xcnt 0x0
	s_add_nc_u64 s[20:21], s[0:1], 8
                                        ; implicit-def: $vgpr28_vgpr29
	s_mov_b32 s28, 0
.LBB1_74:                               ;   in Loop: Header=BB1_33 Depth=2
	global_load_b64 v[28:29], v1, s[0:1]
	s_add_co_i32 s28, s5, -8
.LBB1_75:                               ;   in Loop: Header=BB1_33 Depth=2
	s_delay_alu instid0(SALU_CYCLE_1)
	s_cmp_gt_u32 s28, 7
	s_cbranch_scc1 .LBB1_80
; %bb.76:                               ;   in Loop: Header=BB1_33 Depth=2
	v_mov_b64_e32 v[30:31], 0
	s_cmp_eq_u32 s28, 0
	s_cbranch_scc1 .LBB1_79
; %bb.77:                               ;   in Loop: Header=BB1_33 Depth=2
	s_wait_xcnt 0x0
	s_mov_b64 s[0:1], 0
	s_mov_b64 s[22:23], s[20:21]
.LBB1_78:                               ;   Parent Loop BB1_3 Depth=1
                                        ;     Parent Loop BB1_33 Depth=2
                                        ; =>    This Inner Loop Header: Depth=3
	global_load_u8 v0, v1, s[22:23]
	s_add_co_i32 s28, s28, -1
	s_wait_xcnt 0x0
	s_add_nc_u64 s[22:23], s[22:23], 1
	s_cmp_lg_u32 s28, 0
	s_wait_loadcnt 0x0
	v_and_b32_e32 v0, 0xffff, v0
	s_delay_alu instid0(VALU_DEP_1) | instskip(SKIP_1) | instid1(VALU_DEP_1)
	v_lshlrev_b64_e32 v[10:11], s0, v[0:1]
	s_add_nc_u64 s[0:1], s[0:1], 8
	v_or_b32_e32 v30, v10, v30
	s_delay_alu instid0(VALU_DEP_2)
	v_or_b32_e32 v31, v11, v31
	s_cbranch_scc1 .LBB1_78
.LBB1_79:                               ;   in Loop: Header=BB1_33 Depth=2
	s_wait_xcnt 0x0
	s_cbranch_execz .LBB1_81
	s_branch .LBB1_82
.LBB1_80:                               ;   in Loop: Header=BB1_33 Depth=2
	s_wait_xcnt 0x0
.LBB1_81:                               ;   in Loop: Header=BB1_33 Depth=2
	global_load_b64 v[30:31], v1, s[20:21]
.LBB1_82:                               ;   in Loop: Header=BB1_33 Depth=2
	v_readfirstlane_b32 s0, v41
	v_mov_b64_e32 v[10:11], 0
	s_delay_alu instid0(VALU_DEP_2)
	v_cmp_eq_u32_e64 s0, s0, v41
	s_wait_xcnt 0x0
	s_and_saveexec_b32 s1, s0
	s_cbranch_execz .LBB1_88
; %bb.83:                               ;   in Loop: Header=BB1_33 Depth=2
	global_load_b64 v[34:35], v1, s[14:15] offset:24 scope:SCOPE_SYS
	s_wait_loadcnt 0x0
	global_inv scope:SCOPE_SYS
	s_clause 0x1
	global_load_b64 v[10:11], v1, s[14:15] offset:40
	global_load_b64 v[32:33], v1, s[14:15]
	s_mov_b32 s5, exec_lo
	s_wait_loadcnt 0x1
	v_and_b32_e32 v10, v10, v34
	v_and_b32_e32 v11, v11, v35
	s_delay_alu instid0(VALU_DEP_1) | instskip(SKIP_1) | instid1(VALU_DEP_1)
	v_mul_u64_e32 v[10:11], 24, v[10:11]
	s_wait_loadcnt 0x0
	v_add_nc_u64_e32 v[10:11], v[32:33], v[10:11]
	global_load_b64 v[32:33], v[10:11], off scope:SCOPE_SYS
	s_wait_xcnt 0x0
	s_wait_loadcnt 0x0
	global_atomic_cmpswap_b64 v[10:11], v1, v[32:35], s[14:15] offset:24 th:TH_ATOMIC_RETURN scope:SCOPE_SYS
	s_wait_loadcnt 0x0
	global_inv scope:SCOPE_SYS
	s_wait_xcnt 0x0
	v_cmpx_ne_u64_e64 v[10:11], v[34:35]
	s_cbranch_execz .LBB1_87
; %bb.84:                               ;   in Loop: Header=BB1_33 Depth=2
	s_mov_b32 s20, 0
.LBB1_85:                               ;   Parent Loop BB1_3 Depth=1
                                        ;     Parent Loop BB1_33 Depth=2
                                        ; =>    This Inner Loop Header: Depth=3
	s_sleep 1
	s_clause 0x1
	global_load_b64 v[32:33], v1, s[14:15] offset:40
	global_load_b64 v[38:39], v1, s[14:15]
	v_mov_b64_e32 v[34:35], v[10:11]
	s_wait_loadcnt 0x1
	s_delay_alu instid0(VALU_DEP_1) | instskip(SKIP_1) | instid1(VALU_DEP_1)
	v_and_b32_e32 v0, v32, v34
	s_wait_loadcnt 0x0
	v_mad_nc_u64_u32 v[10:11], v0, 24, v[38:39]
	s_delay_alu instid0(VALU_DEP_3) | instskip(NEXT) | instid1(VALU_DEP_1)
	v_and_b32_e32 v0, v33, v35
	v_mad_u32 v11, v0, 24, v11
	global_load_b64 v[32:33], v[10:11], off scope:SCOPE_SYS
	s_wait_xcnt 0x0
	s_wait_loadcnt 0x0
	global_atomic_cmpswap_b64 v[10:11], v1, v[32:35], s[14:15] offset:24 th:TH_ATOMIC_RETURN scope:SCOPE_SYS
	s_wait_loadcnt 0x0
	global_inv scope:SCOPE_SYS
	v_cmp_eq_u64_e32 vcc_lo, v[10:11], v[34:35]
	s_or_b32 s20, vcc_lo, s20
	s_wait_xcnt 0x0
	s_and_not1_b32 exec_lo, exec_lo, s20
	s_cbranch_execnz .LBB1_85
; %bb.86:                               ;   in Loop: Header=BB1_33 Depth=2
	s_or_b32 exec_lo, exec_lo, s20
.LBB1_87:                               ;   in Loop: Header=BB1_33 Depth=2
	s_delay_alu instid0(SALU_CYCLE_1)
	s_or_b32 exec_lo, exec_lo, s5
.LBB1_88:                               ;   in Loop: Header=BB1_33 Depth=2
	s_delay_alu instid0(SALU_CYCLE_1)
	s_or_b32 exec_lo, exec_lo, s1
	s_clause 0x1
	global_load_b64 v[38:39], v1, s[14:15] offset:40
	global_load_b128 v[32:35], v1, s[14:15]
	v_readfirstlane_b32 s20, v10
	v_readfirstlane_b32 s21, v11
	s_mov_b32 s1, exec_lo
	s_wait_loadcnt 0x1
	v_and_b32_e32 v38, s20, v38
	v_and_b32_e32 v39, s21, v39
	s_delay_alu instid0(VALU_DEP_1) | instskip(SKIP_1) | instid1(VALU_DEP_1)
	v_mul_u64_e32 v[10:11], 24, v[38:39]
	s_wait_loadcnt 0x0
	v_add_nc_u64_e32 v[10:11], v[32:33], v[10:11]
	s_wait_xcnt 0x0
	s_and_saveexec_b32 s5, s0
	s_cbranch_execz .LBB1_90
; %bb.89:                               ;   in Loop: Header=BB1_33 Depth=2
	v_mov_b32_e32 v0, s1
	global_store_b128 v[10:11], v[0:3], off offset:8
.LBB1_90:                               ;   in Loop: Header=BB1_33 Depth=2
	s_wait_xcnt 0x0
	s_or_b32 exec_lo, exec_lo, s5
	v_cmp_lt_u64_e64 vcc_lo, s[6:7], 57
	v_lshlrev_b64_e32 v[38:39], 12, v[38:39]
	v_and_b32_e32 v5, 0xffffff1f, v16
	s_lshl_b32 s1, s18, 2
	s_delay_alu instid0(SALU_CYCLE_1) | instskip(SKIP_1) | instid1(VALU_DEP_3)
	s_add_co_i32 s1, s1, 28
	v_cndmask_b32_e32 v0, 0, v6, vcc_lo
	v_add_nc_u64_e32 v[34:35], v[34:35], v[38:39]
	s_delay_alu instid0(VALU_DEP_2) | instskip(NEXT) | instid1(VALU_DEP_2)
	v_or_b32_e32 v0, v5, v0
	v_readfirstlane_b32 s22, v34
	s_delay_alu instid0(VALU_DEP_3) | instskip(NEXT) | instid1(VALU_DEP_3)
	v_readfirstlane_b32 s23, v35
	v_and_or_b32 v16, 0x1e0, s1, v0
	s_clause 0x3
	global_store_b128 v36, v[16:19], s[22:23]
	global_store_b128 v36, v[20:23], s[22:23] offset:16
	global_store_b128 v36, v[24:27], s[22:23] offset:32
	;; [unrolled: 1-line block ×3, first 2 shown]
	s_wait_xcnt 0x0
	s_and_saveexec_b32 s1, s0
	s_cbranch_execz .LBB1_98
; %bb.91:                               ;   in Loop: Header=BB1_33 Depth=2
	s_clause 0x1
	global_load_b64 v[24:25], v1, s[14:15] offset:32 scope:SCOPE_SYS
	global_load_b64 v[16:17], v1, s[14:15] offset:40
	s_mov_b32 s5, exec_lo
	v_dual_mov_b32 v22, s20 :: v_dual_mov_b32 v23, s21
	s_wait_loadcnt 0x0
	v_and_b32_e32 v17, s21, v17
	v_and_b32_e32 v16, s20, v16
	s_delay_alu instid0(VALU_DEP_1) | instskip(NEXT) | instid1(VALU_DEP_1)
	v_mul_u64_e32 v[16:17], 24, v[16:17]
	v_add_nc_u64_e32 v[20:21], v[32:33], v[16:17]
	global_store_b64 v[20:21], v[24:25], off
	global_wb scope:SCOPE_SYS
	s_wait_storecnt 0x0
	s_wait_xcnt 0x0
	global_atomic_cmpswap_b64 v[18:19], v1, v[22:25], s[14:15] offset:32 th:TH_ATOMIC_RETURN scope:SCOPE_SYS
	s_wait_loadcnt 0x0
	v_cmpx_ne_u64_e64 v[18:19], v[24:25]
	s_cbranch_execz .LBB1_94
; %bb.92:                               ;   in Loop: Header=BB1_33 Depth=2
	s_mov_b32 s22, 0
.LBB1_93:                               ;   Parent Loop BB1_3 Depth=1
                                        ;     Parent Loop BB1_33 Depth=2
                                        ; =>    This Inner Loop Header: Depth=3
	v_dual_mov_b32 v16, s20 :: v_dual_mov_b32 v17, s21
	s_sleep 1
	global_store_b64 v[20:21], v[18:19], off
	global_wb scope:SCOPE_SYS
	s_wait_storecnt 0x0
	s_wait_xcnt 0x0
	global_atomic_cmpswap_b64 v[16:17], v1, v[16:19], s[14:15] offset:32 th:TH_ATOMIC_RETURN scope:SCOPE_SYS
	s_wait_loadcnt 0x0
	v_cmp_eq_u64_e32 vcc_lo, v[16:17], v[18:19]
	v_mov_b64_e32 v[18:19], v[16:17]
	s_or_b32 s22, vcc_lo, s22
	s_delay_alu instid0(SALU_CYCLE_1)
	s_and_not1_b32 exec_lo, exec_lo, s22
	s_cbranch_execnz .LBB1_93
.LBB1_94:                               ;   in Loop: Header=BB1_33 Depth=2
	s_or_b32 exec_lo, exec_lo, s5
	global_load_b64 v[16:17], v1, s[14:15] offset:16
	s_mov_b32 s22, exec_lo
	s_mov_b32 s5, exec_lo
	v_mbcnt_lo_u32_b32 v0, s22, 0
	s_wait_xcnt 0x0
	s_delay_alu instid0(VALU_DEP_1)
	v_cmpx_eq_u32_e32 0, v0
	s_cbranch_execz .LBB1_96
; %bb.95:                               ;   in Loop: Header=BB1_33 Depth=2
	s_bcnt1_i32_b32 s22, s22
	s_delay_alu instid0(SALU_CYCLE_1)
	v_mov_b32_e32 v0, s22
	global_wb scope:SCOPE_SYS
	s_wait_loadcnt 0x0
	s_wait_storecnt 0x0
	global_atomic_add_u64 v[16:17], v[0:1], off offset:8 scope:SCOPE_SYS
.LBB1_96:                               ;   in Loop: Header=BB1_33 Depth=2
	s_wait_xcnt 0x0
	s_or_b32 exec_lo, exec_lo, s5
	s_wait_loadcnt 0x0
	global_load_b64 v[18:19], v[16:17], off offset:16
	s_wait_loadcnt 0x0
	v_cmp_eq_u64_e32 vcc_lo, 0, v[18:19]
	s_cbranch_vccnz .LBB1_98
; %bb.97:                               ;   in Loop: Header=BB1_33 Depth=2
	global_load_b32 v0, v[16:17], off offset:24
	s_wait_loadcnt 0x0
	v_readfirstlane_b32 s5, v0
	global_wb scope:SCOPE_SYS
	s_wait_storecnt 0x0
	s_wait_xcnt 0x0
	global_store_b64 v[18:19], v[0:1], off scope:SCOPE_SYS
	s_and_b32 m0, s5, 0xffffff
	s_sendmsg sendmsg(MSG_INTERRUPT)
.LBB1_98:                               ;   in Loop: Header=BB1_33 Depth=2
	s_wait_xcnt 0x0
	s_or_b32 exec_lo, exec_lo, s1
	v_mov_b32_e32 v37, v1
	s_delay_alu instid0(VALU_DEP_1)
	v_add_nc_u64_e32 v[16:17], v[34:35], v[36:37]
	s_branch .LBB1_102
.LBB1_99:                               ;   in Loop: Header=BB1_102 Depth=3
	s_wait_xcnt 0x0
	s_or_b32 exec_lo, exec_lo, s1
	s_delay_alu instid0(VALU_DEP_1)
	v_readfirstlane_b32 s1, v0
	s_cmp_eq_u32 s1, 0
	s_cbranch_scc1 .LBB1_101
; %bb.100:                              ;   in Loop: Header=BB1_102 Depth=3
	s_sleep 1
	s_cbranch_execnz .LBB1_102
	s_branch .LBB1_104
.LBB1_101:                              ;   in Loop: Header=BB1_33 Depth=2
	s_branch .LBB1_104
.LBB1_102:                              ;   Parent Loop BB1_3 Depth=1
                                        ;     Parent Loop BB1_33 Depth=2
                                        ; =>    This Inner Loop Header: Depth=3
	v_mov_b32_e32 v0, 1
	s_and_saveexec_b32 s1, s0
	s_cbranch_execz .LBB1_99
; %bb.103:                              ;   in Loop: Header=BB1_102 Depth=3
	global_load_b32 v0, v[10:11], off offset:20 scope:SCOPE_SYS
	s_wait_loadcnt 0x0
	global_inv scope:SCOPE_SYS
	v_and_b32_e32 v0, 1, v0
	s_branch .LBB1_99
.LBB1_104:                              ;   in Loop: Header=BB1_33 Depth=2
	global_load_b64 v[16:17], v[16:17], off
	s_wait_xcnt 0x0
	s_and_saveexec_b32 s5, s0
	s_cbranch_execz .LBB1_32
; %bb.105:                              ;   in Loop: Header=BB1_33 Depth=2
	s_clause 0x2
	global_load_b64 v[10:11], v1, s[14:15] offset:40
	global_load_b64 v[22:23], v1, s[14:15] offset:24 scope:SCOPE_SYS
	global_load_b64 v[18:19], v1, s[14:15]
	s_wait_loadcnt 0x2
	v_readfirstlane_b32 s22, v10
	v_readfirstlane_b32 s23, v11
	s_add_nc_u64 s[0:1], s[22:23], 1
	s_delay_alu instid0(SALU_CYCLE_1) | instskip(NEXT) | instid1(SALU_CYCLE_1)
	s_add_nc_u64 s[20:21], s[0:1], s[20:21]
	s_cmp_eq_u64 s[20:21], 0
	s_cselect_b32 s1, s1, s21
	s_cselect_b32 s0, s0, s20
	s_delay_alu instid0(SALU_CYCLE_1) | instskip(SKIP_1) | instid1(SALU_CYCLE_1)
	v_dual_mov_b32 v21, s1 :: v_dual_mov_b32 v20, s0
	s_and_b64 s[20:21], s[0:1], s[22:23]
	s_mul_u64 s[20:21], s[20:21], 24
	s_wait_loadcnt 0x0
	v_add_nc_u64_e32 v[10:11], s[20:21], v[18:19]
	global_store_b64 v[10:11], v[22:23], off
	global_wb scope:SCOPE_SYS
	s_wait_storecnt 0x0
	s_wait_xcnt 0x0
	global_atomic_cmpswap_b64 v[20:21], v1, v[20:23], s[14:15] offset:24 th:TH_ATOMIC_RETURN scope:SCOPE_SYS
	s_wait_loadcnt 0x0
	v_cmp_ne_u64_e32 vcc_lo, v[20:21], v[22:23]
	s_and_b32 exec_lo, exec_lo, vcc_lo
	s_cbranch_execz .LBB1_32
; %bb.106:                              ;   in Loop: Header=BB1_33 Depth=2
	s_mov_b32 s20, 0
.LBB1_107:                              ;   Parent Loop BB1_3 Depth=1
                                        ;     Parent Loop BB1_33 Depth=2
                                        ; =>    This Inner Loop Header: Depth=3
	v_dual_mov_b32 v18, s0 :: v_dual_mov_b32 v19, s1
	s_sleep 1
	global_store_b64 v[10:11], v[20:21], off
	global_wb scope:SCOPE_SYS
	s_wait_storecnt 0x0
	s_wait_xcnt 0x0
	global_atomic_cmpswap_b64 v[18:19], v1, v[18:21], s[14:15] offset:24 th:TH_ATOMIC_RETURN scope:SCOPE_SYS
	s_wait_loadcnt 0x0
	v_cmp_eq_u64_e32 vcc_lo, v[18:19], v[20:21]
	v_mov_b64_e32 v[20:21], v[18:19]
	s_or_b32 s20, vcc_lo, s20
	s_delay_alu instid0(SALU_CYCLE_1)
	s_and_not1_b32 exec_lo, exec_lo, s20
	s_cbranch_execnz .LBB1_107
	s_branch .LBB1_32
.LBB1_108:                              ;   in Loop: Header=BB1_3 Depth=1
	s_branch .LBB1_137
.LBB1_109:                              ;   in Loop: Header=BB1_3 Depth=1
                                        ; implicit-def: $vgpr16_vgpr17
	s_cbranch_execz .LBB1_137
; %bb.110:                              ;   in Loop: Header=BB1_3 Depth=1
	v_readfirstlane_b32 s0, v41
	v_mov_b64_e32 v[6:7], 0
	s_delay_alu instid0(VALU_DEP_2)
	v_cmp_eq_u32_e64 s0, s0, v41
	s_and_saveexec_b32 s1, s0
	s_cbranch_execz .LBB1_116
; %bb.111:                              ;   in Loop: Header=BB1_3 Depth=1
	global_load_b64 v[18:19], v1, s[14:15] offset:24 scope:SCOPE_SYS
	s_wait_loadcnt 0x0
	global_inv scope:SCOPE_SYS
	s_clause 0x1
	global_load_b64 v[6:7], v1, s[14:15] offset:40
	global_load_b64 v[10:11], v1, s[14:15]
	s_mov_b32 s5, exec_lo
	s_wait_loadcnt 0x1
	v_and_b32_e32 v6, v6, v18
	v_and_b32_e32 v7, v7, v19
	s_delay_alu instid0(VALU_DEP_1) | instskip(SKIP_1) | instid1(VALU_DEP_1)
	v_mul_u64_e32 v[6:7], 24, v[6:7]
	s_wait_loadcnt 0x0
	v_add_nc_u64_e32 v[6:7], v[10:11], v[6:7]
	global_load_b64 v[16:17], v[6:7], off scope:SCOPE_SYS
	s_wait_xcnt 0x0
	s_wait_loadcnt 0x0
	global_atomic_cmpswap_b64 v[6:7], v1, v[16:19], s[14:15] offset:24 th:TH_ATOMIC_RETURN scope:SCOPE_SYS
	s_wait_loadcnt 0x0
	global_inv scope:SCOPE_SYS
	s_wait_xcnt 0x0
	v_cmpx_ne_u64_e64 v[6:7], v[18:19]
	s_cbranch_execz .LBB1_115
; %bb.112:                              ;   in Loop: Header=BB1_3 Depth=1
	s_mov_b32 s6, 0
.LBB1_113:                              ;   Parent Loop BB1_3 Depth=1
                                        ; =>  This Inner Loop Header: Depth=2
	s_sleep 1
	s_clause 0x1
	global_load_b64 v[10:11], v1, s[14:15] offset:40
	global_load_b64 v[16:17], v1, s[14:15]
	v_mov_b64_e32 v[18:19], v[6:7]
	s_wait_loadcnt 0x1
	s_delay_alu instid0(VALU_DEP_1) | instskip(SKIP_1) | instid1(VALU_DEP_1)
	v_and_b32_e32 v0, v10, v18
	s_wait_loadcnt 0x0
	v_mad_nc_u64_u32 v[6:7], v0, 24, v[16:17]
	s_delay_alu instid0(VALU_DEP_3) | instskip(NEXT) | instid1(VALU_DEP_1)
	v_and_b32_e32 v0, v11, v19
	v_mad_u32 v7, v0, 24, v7
	global_load_b64 v[16:17], v[6:7], off scope:SCOPE_SYS
	s_wait_xcnt 0x0
	s_wait_loadcnt 0x0
	global_atomic_cmpswap_b64 v[6:7], v1, v[16:19], s[14:15] offset:24 th:TH_ATOMIC_RETURN scope:SCOPE_SYS
	s_wait_loadcnt 0x0
	global_inv scope:SCOPE_SYS
	v_cmp_eq_u64_e32 vcc_lo, v[6:7], v[18:19]
	s_or_b32 s6, vcc_lo, s6
	s_wait_xcnt 0x0
	s_and_not1_b32 exec_lo, exec_lo, s6
	s_cbranch_execnz .LBB1_113
; %bb.114:                              ;   in Loop: Header=BB1_3 Depth=1
	s_or_b32 exec_lo, exec_lo, s6
.LBB1_115:                              ;   in Loop: Header=BB1_3 Depth=1
	s_delay_alu instid0(SALU_CYCLE_1)
	s_or_b32 exec_lo, exec_lo, s5
.LBB1_116:                              ;   in Loop: Header=BB1_3 Depth=1
	s_delay_alu instid0(SALU_CYCLE_1)
	s_or_b32 exec_lo, exec_lo, s1
	s_clause 0x1
	global_load_b64 v[10:11], v1, s[14:15] offset:40
	global_load_b128 v[18:21], v1, s[14:15]
	v_readfirstlane_b32 s16, v6
	v_readfirstlane_b32 s17, v7
	s_mov_b32 s1, exec_lo
	s_wait_loadcnt 0x1
	v_and_b32_e32 v10, s16, v10
	v_and_b32_e32 v11, s17, v11
	s_delay_alu instid0(VALU_DEP_1) | instskip(SKIP_1) | instid1(VALU_DEP_1)
	v_mul_u64_e32 v[6:7], 24, v[10:11]
	s_wait_loadcnt 0x0
	v_add_nc_u64_e32 v[6:7], v[18:19], v[6:7]
	s_wait_xcnt 0x0
	s_and_saveexec_b32 s5, s0
	s_cbranch_execz .LBB1_118
; %bb.117:                              ;   in Loop: Header=BB1_3 Depth=1
	v_mov_b32_e32 v0, s1
	global_store_b128 v[6:7], v[0:3], off offset:8
.LBB1_118:                              ;   in Loop: Header=BB1_3 Depth=1
	s_wait_xcnt 0x0
	s_or_b32 exec_lo, exec_lo, s5
	v_lshlrev_b64_e32 v[10:11], 12, v[10:11]
	s_mov_b32 s6, s4
	s_mov_b32 s7, s4
	;; [unrolled: 1-line block ×3, first 2 shown]
	v_and_or_b32 v14, 0xffffff1f, v14, 32
	v_dual_mov_b32 v16, v1 :: v_dual_mov_b32 v17, v1
	s_delay_alu instid0(VALU_DEP_3) | instskip(SKIP_2) | instid1(VALU_DEP_3)
	v_add_nc_u64_e32 v[10:11], v[20:21], v[10:11]
	v_mov_b64_e32 v[22:23], s[6:7]
	v_mov_b64_e32 v[20:21], s[4:5]
	v_readfirstlane_b32 s18, v10
	s_delay_alu instid0(VALU_DEP_4)
	v_readfirstlane_b32 s19, v11
	s_clause 0x3
	global_store_b128 v36, v[14:17], s[18:19]
	global_store_b128 v36, v[20:23], s[18:19] offset:16
	global_store_b128 v36, v[20:23], s[18:19] offset:32
	;; [unrolled: 1-line block ×3, first 2 shown]
	s_wait_xcnt 0x0
	s_and_saveexec_b32 s1, s0
	s_cbranch_execz .LBB1_126
; %bb.119:                              ;   in Loop: Header=BB1_3 Depth=1
	s_clause 0x1
	global_load_b64 v[22:23], v1, s[14:15] offset:32 scope:SCOPE_SYS
	global_load_b64 v[14:15], v1, s[14:15] offset:40
	s_mov_b32 s5, exec_lo
	v_dual_mov_b32 v20, s16 :: v_dual_mov_b32 v21, s17
	s_wait_loadcnt 0x0
	v_and_b32_e32 v15, s17, v15
	v_and_b32_e32 v14, s16, v14
	s_delay_alu instid0(VALU_DEP_1) | instskip(NEXT) | instid1(VALU_DEP_1)
	v_mul_u64_e32 v[14:15], 24, v[14:15]
	v_add_nc_u64_e32 v[18:19], v[18:19], v[14:15]
	global_store_b64 v[18:19], v[22:23], off
	global_wb scope:SCOPE_SYS
	s_wait_storecnt 0x0
	s_wait_xcnt 0x0
	global_atomic_cmpswap_b64 v[16:17], v1, v[20:23], s[14:15] offset:32 th:TH_ATOMIC_RETURN scope:SCOPE_SYS
	s_wait_loadcnt 0x0
	v_cmpx_ne_u64_e64 v[16:17], v[22:23]
	s_cbranch_execz .LBB1_122
; %bb.120:                              ;   in Loop: Header=BB1_3 Depth=1
	s_mov_b32 s6, 0
.LBB1_121:                              ;   Parent Loop BB1_3 Depth=1
                                        ; =>  This Inner Loop Header: Depth=2
	v_dual_mov_b32 v14, s16 :: v_dual_mov_b32 v15, s17
	s_sleep 1
	global_store_b64 v[18:19], v[16:17], off
	global_wb scope:SCOPE_SYS
	s_wait_storecnt 0x0
	s_wait_xcnt 0x0
	global_atomic_cmpswap_b64 v[14:15], v1, v[14:17], s[14:15] offset:32 th:TH_ATOMIC_RETURN scope:SCOPE_SYS
	s_wait_loadcnt 0x0
	v_cmp_eq_u64_e32 vcc_lo, v[14:15], v[16:17]
	v_mov_b64_e32 v[16:17], v[14:15]
	s_or_b32 s6, vcc_lo, s6
	s_delay_alu instid0(SALU_CYCLE_1)
	s_and_not1_b32 exec_lo, exec_lo, s6
	s_cbranch_execnz .LBB1_121
.LBB1_122:                              ;   in Loop: Header=BB1_3 Depth=1
	s_or_b32 exec_lo, exec_lo, s5
	global_load_b64 v[14:15], v1, s[14:15] offset:16
	s_mov_b32 s6, exec_lo
	s_mov_b32 s5, exec_lo
	v_mbcnt_lo_u32_b32 v0, s6, 0
	s_wait_xcnt 0x0
	s_delay_alu instid0(VALU_DEP_1)
	v_cmpx_eq_u32_e32 0, v0
	s_cbranch_execz .LBB1_124
; %bb.123:                              ;   in Loop: Header=BB1_3 Depth=1
	s_bcnt1_i32_b32 s6, s6
	s_delay_alu instid0(SALU_CYCLE_1)
	v_mov_b32_e32 v0, s6
	global_wb scope:SCOPE_SYS
	s_wait_loadcnt 0x0
	s_wait_storecnt 0x0
	global_atomic_add_u64 v[14:15], v[0:1], off offset:8 scope:SCOPE_SYS
.LBB1_124:                              ;   in Loop: Header=BB1_3 Depth=1
	s_wait_xcnt 0x0
	s_or_b32 exec_lo, exec_lo, s5
	s_wait_loadcnt 0x0
	global_load_b64 v[16:17], v[14:15], off offset:16
	s_wait_loadcnt 0x0
	v_cmp_eq_u64_e32 vcc_lo, 0, v[16:17]
	s_cbranch_vccnz .LBB1_126
; %bb.125:                              ;   in Loop: Header=BB1_3 Depth=1
	global_load_b32 v0, v[14:15], off offset:24
	s_wait_loadcnt 0x0
	v_readfirstlane_b32 s5, v0
	global_wb scope:SCOPE_SYS
	s_wait_storecnt 0x0
	s_wait_xcnt 0x0
	global_store_b64 v[16:17], v[0:1], off scope:SCOPE_SYS
	s_and_b32 m0, s5, 0xffffff
	s_sendmsg sendmsg(MSG_INTERRUPT)
.LBB1_126:                              ;   in Loop: Header=BB1_3 Depth=1
	s_wait_xcnt 0x0
	s_or_b32 exec_lo, exec_lo, s1
	v_mov_b32_e32 v37, v1
	s_delay_alu instid0(VALU_DEP_1)
	v_add_nc_u64_e32 v[10:11], v[10:11], v[36:37]
	s_branch .LBB1_130
.LBB1_127:                              ;   in Loop: Header=BB1_130 Depth=2
	s_wait_xcnt 0x0
	s_or_b32 exec_lo, exec_lo, s1
	s_delay_alu instid0(VALU_DEP_1)
	v_readfirstlane_b32 s1, v0
	s_cmp_eq_u32 s1, 0
	s_cbranch_scc1 .LBB1_129
; %bb.128:                              ;   in Loop: Header=BB1_130 Depth=2
	s_sleep 1
	s_cbranch_execnz .LBB1_130
	s_branch .LBB1_132
.LBB1_129:                              ;   in Loop: Header=BB1_3 Depth=1
	s_branch .LBB1_132
.LBB1_130:                              ;   Parent Loop BB1_3 Depth=1
                                        ; =>  This Inner Loop Header: Depth=2
	v_mov_b32_e32 v0, 1
	s_and_saveexec_b32 s1, s0
	s_cbranch_execz .LBB1_127
; %bb.131:                              ;   in Loop: Header=BB1_130 Depth=2
	global_load_b32 v0, v[6:7], off offset:20 scope:SCOPE_SYS
	s_wait_loadcnt 0x0
	global_inv scope:SCOPE_SYS
	v_and_b32_e32 v0, 1, v0
	s_branch .LBB1_127
.LBB1_132:                              ;   in Loop: Header=BB1_3 Depth=1
	global_load_b64 v[16:17], v[10:11], off
	s_wait_xcnt 0x0
	s_and_saveexec_b32 s5, s0
	s_cbranch_execz .LBB1_136
; %bb.133:                              ;   in Loop: Header=BB1_3 Depth=1
	s_clause 0x2
	global_load_b64 v[6:7], v1, s[14:15] offset:40
	global_load_b64 v[22:23], v1, s[14:15] offset:24 scope:SCOPE_SYS
	global_load_b64 v[10:11], v1, s[14:15]
	s_wait_loadcnt 0x2
	v_readfirstlane_b32 s6, v6
	v_readfirstlane_b32 s7, v7
	s_add_nc_u64 s[0:1], s[6:7], 1
	s_delay_alu instid0(SALU_CYCLE_1) | instskip(NEXT) | instid1(SALU_CYCLE_1)
	s_add_nc_u64 s[16:17], s[0:1], s[16:17]
	s_cmp_eq_u64 s[16:17], 0
	s_cselect_b32 s1, s1, s17
	s_cselect_b32 s0, s0, s16
	s_delay_alu instid0(SALU_CYCLE_1) | instskip(SKIP_1) | instid1(SALU_CYCLE_1)
	v_dual_mov_b32 v21, s1 :: v_dual_mov_b32 v20, s0
	s_and_b64 s[6:7], s[0:1], s[6:7]
	s_mul_u64 s[6:7], s[6:7], 24
	s_wait_loadcnt 0x0
	v_add_nc_u64_e32 v[6:7], s[6:7], v[10:11]
	global_store_b64 v[6:7], v[22:23], off
	global_wb scope:SCOPE_SYS
	s_wait_storecnt 0x0
	s_wait_xcnt 0x0
	global_atomic_cmpswap_b64 v[20:21], v1, v[20:23], s[14:15] offset:24 th:TH_ATOMIC_RETURN scope:SCOPE_SYS
	s_wait_loadcnt 0x0
	v_cmp_ne_u64_e32 vcc_lo, v[20:21], v[22:23]
	s_and_b32 exec_lo, exec_lo, vcc_lo
	s_cbranch_execz .LBB1_136
; %bb.134:                              ;   in Loop: Header=BB1_3 Depth=1
	s_mov_b32 s6, 0
.LBB1_135:                              ;   Parent Loop BB1_3 Depth=1
                                        ; =>  This Inner Loop Header: Depth=2
	v_dual_mov_b32 v18, s0 :: v_dual_mov_b32 v19, s1
	s_sleep 1
	global_store_b64 v[6:7], v[20:21], off
	global_wb scope:SCOPE_SYS
	s_wait_storecnt 0x0
	s_wait_xcnt 0x0
	global_atomic_cmpswap_b64 v[10:11], v1, v[18:21], s[14:15] offset:24 th:TH_ATOMIC_RETURN scope:SCOPE_SYS
	s_wait_loadcnt 0x0
	v_cmp_eq_u64_e32 vcc_lo, v[10:11], v[20:21]
	v_mov_b64_e32 v[20:21], v[10:11]
	s_or_b32 s6, vcc_lo, s6
	s_delay_alu instid0(SALU_CYCLE_1)
	s_and_not1_b32 exec_lo, exec_lo, s6
	s_cbranch_execnz .LBB1_135
.LBB1_136:                              ;   in Loop: Header=BB1_3 Depth=1
	s_or_b32 exec_lo, exec_lo, s5
.LBB1_137:                              ;   in Loop: Header=BB1_3 Depth=1
	v_readfirstlane_b32 s0, v41
	v_mov_b64_e32 v[6:7], 0
	s_delay_alu instid0(VALU_DEP_2)
	v_cmp_eq_u32_e64 s0, s0, v41
	s_and_saveexec_b32 s1, s0
	s_cbranch_execz .LBB1_143
; %bb.138:                              ;   in Loop: Header=BB1_3 Depth=1
	global_load_b64 v[20:21], v1, s[14:15] offset:24 scope:SCOPE_SYS
	s_wait_loadcnt 0x0
	global_inv scope:SCOPE_SYS
	s_clause 0x1
	global_load_b64 v[6:7], v1, s[14:15] offset:40
	global_load_b64 v[10:11], v1, s[14:15]
	s_mov_b32 s5, exec_lo
	s_wait_loadcnt 0x1
	v_and_b32_e32 v6, v6, v20
	v_and_b32_e32 v7, v7, v21
	s_delay_alu instid0(VALU_DEP_1) | instskip(SKIP_1) | instid1(VALU_DEP_1)
	v_mul_u64_e32 v[6:7], 24, v[6:7]
	s_wait_loadcnt 0x0
	v_add_nc_u64_e32 v[6:7], v[10:11], v[6:7]
	global_load_b64 v[18:19], v[6:7], off scope:SCOPE_SYS
	s_wait_xcnt 0x0
	s_wait_loadcnt 0x0
	global_atomic_cmpswap_b64 v[6:7], v1, v[18:21], s[14:15] offset:24 th:TH_ATOMIC_RETURN scope:SCOPE_SYS
	s_wait_loadcnt 0x0
	global_inv scope:SCOPE_SYS
	s_wait_xcnt 0x0
	v_cmpx_ne_u64_e64 v[6:7], v[20:21]
	s_cbranch_execz .LBB1_142
; %bb.139:                              ;   in Loop: Header=BB1_3 Depth=1
	s_mov_b32 s6, 0
.LBB1_140:                              ;   Parent Loop BB1_3 Depth=1
                                        ; =>  This Inner Loop Header: Depth=2
	s_sleep 1
	s_clause 0x1
	global_load_b64 v[10:11], v1, s[14:15] offset:40
	global_load_b64 v[14:15], v1, s[14:15]
	v_mov_b64_e32 v[20:21], v[6:7]
	s_wait_loadcnt 0x1
	s_delay_alu instid0(VALU_DEP_1) | instskip(SKIP_1) | instid1(VALU_DEP_1)
	v_and_b32_e32 v0, v10, v20
	s_wait_loadcnt 0x0
	v_mad_nc_u64_u32 v[6:7], v0, 24, v[14:15]
	s_delay_alu instid0(VALU_DEP_3) | instskip(NEXT) | instid1(VALU_DEP_1)
	v_and_b32_e32 v0, v11, v21
	v_mad_u32 v7, v0, 24, v7
	global_load_b64 v[18:19], v[6:7], off scope:SCOPE_SYS
	s_wait_xcnt 0x0
	s_wait_loadcnt 0x0
	global_atomic_cmpswap_b64 v[6:7], v1, v[18:21], s[14:15] offset:24 th:TH_ATOMIC_RETURN scope:SCOPE_SYS
	s_wait_loadcnt 0x0
	global_inv scope:SCOPE_SYS
	v_cmp_eq_u64_e32 vcc_lo, v[6:7], v[20:21]
	s_or_b32 s6, vcc_lo, s6
	s_wait_xcnt 0x0
	s_and_not1_b32 exec_lo, exec_lo, s6
	s_cbranch_execnz .LBB1_140
; %bb.141:                              ;   in Loop: Header=BB1_3 Depth=1
	s_or_b32 exec_lo, exec_lo, s6
.LBB1_142:                              ;   in Loop: Header=BB1_3 Depth=1
	s_delay_alu instid0(SALU_CYCLE_1)
	s_or_b32 exec_lo, exec_lo, s5
.LBB1_143:                              ;   in Loop: Header=BB1_3 Depth=1
	s_delay_alu instid0(SALU_CYCLE_1)
	s_or_b32 exec_lo, exec_lo, s1
	s_clause 0x1
	global_load_b64 v[10:11], v1, s[14:15] offset:40
	global_load_b128 v[20:23], v1, s[14:15]
	v_readfirstlane_b32 s16, v6
	v_readfirstlane_b32 s17, v7
	s_mov_b32 s1, exec_lo
	s_wait_loadcnt 0x1
	v_and_b32_e32 v10, s16, v10
	v_and_b32_e32 v11, s17, v11
	s_delay_alu instid0(VALU_DEP_1) | instskip(SKIP_1) | instid1(VALU_DEP_1)
	v_mul_u64_e32 v[6:7], 24, v[10:11]
	s_wait_loadcnt 0x0
	v_add_nc_u64_e32 v[6:7], v[20:21], v[6:7]
	s_wait_xcnt 0x0
	s_and_saveexec_b32 s5, s0
	s_cbranch_execz .LBB1_145
; %bb.144:                              ;   in Loop: Header=BB1_3 Depth=1
	v_mov_b32_e32 v0, s1
	global_store_b128 v[6:7], v[0:3], off offset:8
.LBB1_145:                              ;   in Loop: Header=BB1_3 Depth=1
	s_wait_xcnt 0x0
	s_or_b32 exec_lo, exec_lo, s5
	v_lshlrev_b64_e32 v[10:11], 12, v[10:11]
	s_mov_b32 s6, s4
	s_mov_b32 s7, s4
	;; [unrolled: 1-line block ×3, first 2 shown]
	v_and_or_b32 v16, 0xffffff1f, v16, 32
	v_dual_mov_b32 v18, v40 :: v_dual_mov_b32 v19, v1
	s_delay_alu instid0(VALU_DEP_3) | instskip(SKIP_2) | instid1(VALU_DEP_3)
	v_add_nc_u64_e32 v[10:11], v[22:23], v[10:11]
	v_mov_b64_e32 v[24:25], s[6:7]
	v_mov_b64_e32 v[22:23], s[4:5]
	v_readfirstlane_b32 s18, v10
	s_delay_alu instid0(VALU_DEP_4)
	v_readfirstlane_b32 s19, v11
	s_clause 0x3
	global_store_b128 v36, v[16:19], s[18:19]
	global_store_b128 v36, v[22:25], s[18:19] offset:16
	global_store_b128 v36, v[22:25], s[18:19] offset:32
	;; [unrolled: 1-line block ×3, first 2 shown]
	s_wait_xcnt 0x0
	s_and_saveexec_b32 s1, s0
	s_cbranch_execz .LBB1_153
; %bb.146:                              ;   in Loop: Header=BB1_3 Depth=1
	s_clause 0x1
	global_load_b64 v[22:23], v1, s[14:15] offset:32 scope:SCOPE_SYS
	global_load_b64 v[14:15], v1, s[14:15] offset:40
	s_mov_b32 s5, exec_lo
	s_wait_loadcnt 0x0
	v_and_b32_e32 v14, s16, v14
	v_and_b32_e32 v15, s17, v15
	s_delay_alu instid0(VALU_DEP_1) | instskip(NEXT) | instid1(VALU_DEP_1)
	v_mul_u64_e32 v[14:15], 24, v[14:15]
	v_add_nc_u64_e32 v[18:19], v[20:21], v[14:15]
	v_dual_mov_b32 v20, s16 :: v_dual_mov_b32 v21, s17
	global_store_b64 v[18:19], v[22:23], off
	global_wb scope:SCOPE_SYS
	s_wait_storecnt 0x0
	s_wait_xcnt 0x0
	global_atomic_cmpswap_b64 v[16:17], v1, v[20:23], s[14:15] offset:32 th:TH_ATOMIC_RETURN scope:SCOPE_SYS
	s_wait_loadcnt 0x0
	v_cmpx_ne_u64_e64 v[16:17], v[22:23]
	s_cbranch_execz .LBB1_149
; %bb.147:                              ;   in Loop: Header=BB1_3 Depth=1
	s_mov_b32 s6, 0
.LBB1_148:                              ;   Parent Loop BB1_3 Depth=1
                                        ; =>  This Inner Loop Header: Depth=2
	v_dual_mov_b32 v14, s16 :: v_dual_mov_b32 v15, s17
	s_sleep 1
	global_store_b64 v[18:19], v[16:17], off
	global_wb scope:SCOPE_SYS
	s_wait_storecnt 0x0
	s_wait_xcnt 0x0
	global_atomic_cmpswap_b64 v[14:15], v1, v[14:17], s[14:15] offset:32 th:TH_ATOMIC_RETURN scope:SCOPE_SYS
	s_wait_loadcnt 0x0
	v_cmp_eq_u64_e32 vcc_lo, v[14:15], v[16:17]
	v_mov_b64_e32 v[16:17], v[14:15]
	s_or_b32 s6, vcc_lo, s6
	s_delay_alu instid0(SALU_CYCLE_1)
	s_and_not1_b32 exec_lo, exec_lo, s6
	s_cbranch_execnz .LBB1_148
.LBB1_149:                              ;   in Loop: Header=BB1_3 Depth=1
	s_or_b32 exec_lo, exec_lo, s5
	global_load_b64 v[14:15], v1, s[14:15] offset:16
	s_mov_b32 s6, exec_lo
	s_mov_b32 s5, exec_lo
	v_mbcnt_lo_u32_b32 v0, s6, 0
	s_wait_xcnt 0x0
	s_delay_alu instid0(VALU_DEP_1)
	v_cmpx_eq_u32_e32 0, v0
	s_cbranch_execz .LBB1_151
; %bb.150:                              ;   in Loop: Header=BB1_3 Depth=1
	s_bcnt1_i32_b32 s6, s6
	s_delay_alu instid0(SALU_CYCLE_1)
	v_mov_b32_e32 v0, s6
	global_wb scope:SCOPE_SYS
	s_wait_loadcnt 0x0
	s_wait_storecnt 0x0
	global_atomic_add_u64 v[14:15], v[0:1], off offset:8 scope:SCOPE_SYS
.LBB1_151:                              ;   in Loop: Header=BB1_3 Depth=1
	s_wait_xcnt 0x0
	s_or_b32 exec_lo, exec_lo, s5
	s_wait_loadcnt 0x0
	global_load_b64 v[16:17], v[14:15], off offset:16
	s_wait_loadcnt 0x0
	v_cmp_eq_u64_e32 vcc_lo, 0, v[16:17]
	s_cbranch_vccnz .LBB1_153
; %bb.152:                              ;   in Loop: Header=BB1_3 Depth=1
	global_load_b32 v0, v[14:15], off offset:24
	s_wait_loadcnt 0x0
	v_readfirstlane_b32 s5, v0
	global_wb scope:SCOPE_SYS
	s_wait_storecnt 0x0
	s_wait_xcnt 0x0
	global_store_b64 v[16:17], v[0:1], off scope:SCOPE_SYS
	s_and_b32 m0, s5, 0xffffff
	s_sendmsg sendmsg(MSG_INTERRUPT)
.LBB1_153:                              ;   in Loop: Header=BB1_3 Depth=1
	s_wait_xcnt 0x0
	s_or_b32 exec_lo, exec_lo, s1
	v_mov_b32_e32 v37, v1
	s_delay_alu instid0(VALU_DEP_1)
	v_add_nc_u64_e32 v[10:11], v[10:11], v[36:37]
	s_branch .LBB1_157
.LBB1_154:                              ;   in Loop: Header=BB1_157 Depth=2
	s_wait_xcnt 0x0
	s_or_b32 exec_lo, exec_lo, s1
	s_delay_alu instid0(VALU_DEP_1)
	v_readfirstlane_b32 s1, v0
	s_cmp_eq_u32 s1, 0
	s_cbranch_scc1 .LBB1_156
; %bb.155:                              ;   in Loop: Header=BB1_157 Depth=2
	s_sleep 1
	s_cbranch_execnz .LBB1_157
	s_branch .LBB1_159
.LBB1_156:                              ;   in Loop: Header=BB1_3 Depth=1
	s_branch .LBB1_159
.LBB1_157:                              ;   Parent Loop BB1_3 Depth=1
                                        ; =>  This Inner Loop Header: Depth=2
	v_mov_b32_e32 v0, 1
	s_and_saveexec_b32 s1, s0
	s_cbranch_execz .LBB1_154
; %bb.158:                              ;   in Loop: Header=BB1_157 Depth=2
	global_load_b32 v0, v[6:7], off offset:20 scope:SCOPE_SYS
	s_wait_loadcnt 0x0
	global_inv scope:SCOPE_SYS
	v_and_b32_e32 v0, 1, v0
	s_branch .LBB1_154
.LBB1_159:                              ;   in Loop: Header=BB1_3 Depth=1
	global_load_b64 v[10:11], v[10:11], off
	s_wait_xcnt 0x0
	s_and_saveexec_b32 s5, s0
	s_cbranch_execz .LBB1_163
; %bb.160:                              ;   in Loop: Header=BB1_3 Depth=1
	s_clause 0x2
	global_load_b64 v[6:7], v1, s[14:15] offset:40
	global_load_b64 v[18:19], v1, s[14:15] offset:24 scope:SCOPE_SYS
	global_load_b64 v[14:15], v1, s[14:15]
	s_wait_loadcnt 0x2
	v_readfirstlane_b32 s6, v6
	v_readfirstlane_b32 s7, v7
	s_add_nc_u64 s[0:1], s[6:7], 1
	s_delay_alu instid0(SALU_CYCLE_1) | instskip(NEXT) | instid1(SALU_CYCLE_1)
	s_add_nc_u64 s[16:17], s[0:1], s[16:17]
	s_cmp_eq_u64 s[16:17], 0
	s_cselect_b32 s1, s1, s17
	s_cselect_b32 s0, s0, s16
	s_delay_alu instid0(SALU_CYCLE_1) | instskip(SKIP_1) | instid1(SALU_CYCLE_1)
	v_dual_mov_b32 v17, s1 :: v_dual_mov_b32 v16, s0
	s_and_b64 s[6:7], s[0:1], s[6:7]
	s_mul_u64 s[6:7], s[6:7], 24
	s_wait_loadcnt 0x0
	v_add_nc_u64_e32 v[6:7], s[6:7], v[14:15]
	global_store_b64 v[6:7], v[18:19], off
	global_wb scope:SCOPE_SYS
	s_wait_storecnt 0x0
	s_wait_xcnt 0x0
	global_atomic_cmpswap_b64 v[16:17], v1, v[16:19], s[14:15] offset:24 th:TH_ATOMIC_RETURN scope:SCOPE_SYS
	s_wait_loadcnt 0x0
	v_cmp_ne_u64_e32 vcc_lo, v[16:17], v[18:19]
	s_and_b32 exec_lo, exec_lo, vcc_lo
	s_cbranch_execz .LBB1_163
; %bb.161:                              ;   in Loop: Header=BB1_3 Depth=1
	s_mov_b32 s6, 0
.LBB1_162:                              ;   Parent Loop BB1_3 Depth=1
                                        ; =>  This Inner Loop Header: Depth=2
	v_dual_mov_b32 v14, s0 :: v_dual_mov_b32 v15, s1
	s_sleep 1
	global_store_b64 v[6:7], v[16:17], off
	global_wb scope:SCOPE_SYS
	s_wait_storecnt 0x0
	s_wait_xcnt 0x0
	global_atomic_cmpswap_b64 v[14:15], v1, v[14:17], s[14:15] offset:24 th:TH_ATOMIC_RETURN scope:SCOPE_SYS
	s_wait_loadcnt 0x0
	v_cmp_eq_u64_e32 vcc_lo, v[14:15], v[16:17]
	v_mov_b64_e32 v[16:17], v[14:15]
	s_or_b32 s6, vcc_lo, s6
	s_delay_alu instid0(SALU_CYCLE_1)
	s_and_not1_b32 exec_lo, exec_lo, s6
	s_cbranch_execnz .LBB1_162
.LBB1_163:                              ;   in Loop: Header=BB1_3 Depth=1
	s_or_b32 exec_lo, exec_lo, s5
	v_readfirstlane_b32 s0, v41
	v_mov_b64_e32 v[6:7], 0
	s_delay_alu instid0(VALU_DEP_2)
	v_cmp_eq_u32_e64 s0, s0, v41
	s_and_saveexec_b32 s1, s0
	s_cbranch_execz .LBB1_169
; %bb.164:                              ;   in Loop: Header=BB1_3 Depth=1
	global_load_b64 v[16:17], v1, s[14:15] offset:24 scope:SCOPE_SYS
	s_wait_loadcnt 0x0
	global_inv scope:SCOPE_SYS
	s_clause 0x1
	global_load_b64 v[6:7], v1, s[14:15] offset:40
	global_load_b64 v[14:15], v1, s[14:15]
	s_mov_b32 s5, exec_lo
	s_wait_loadcnt 0x1
	v_and_b32_e32 v6, v6, v16
	v_and_b32_e32 v7, v7, v17
	s_delay_alu instid0(VALU_DEP_1) | instskip(SKIP_1) | instid1(VALU_DEP_1)
	v_mul_u64_e32 v[6:7], 24, v[6:7]
	s_wait_loadcnt 0x0
	v_add_nc_u64_e32 v[6:7], v[14:15], v[6:7]
	global_load_b64 v[14:15], v[6:7], off scope:SCOPE_SYS
	s_wait_xcnt 0x0
	s_wait_loadcnt 0x0
	global_atomic_cmpswap_b64 v[6:7], v1, v[14:17], s[14:15] offset:24 th:TH_ATOMIC_RETURN scope:SCOPE_SYS
	s_wait_loadcnt 0x0
	global_inv scope:SCOPE_SYS
	s_wait_xcnt 0x0
	v_cmpx_ne_u64_e64 v[6:7], v[16:17]
	s_cbranch_execz .LBB1_168
; %bb.165:                              ;   in Loop: Header=BB1_3 Depth=1
	s_mov_b32 s6, 0
.LBB1_166:                              ;   Parent Loop BB1_3 Depth=1
                                        ; =>  This Inner Loop Header: Depth=2
	s_sleep 1
	s_clause 0x1
	global_load_b64 v[14:15], v1, s[14:15] offset:40
	global_load_b64 v[18:19], v1, s[14:15]
	v_mov_b64_e32 v[16:17], v[6:7]
	s_wait_loadcnt 0x1
	s_delay_alu instid0(VALU_DEP_1) | instskip(SKIP_1) | instid1(VALU_DEP_1)
	v_and_b32_e32 v0, v14, v16
	s_wait_loadcnt 0x0
	v_mad_nc_u64_u32 v[6:7], v0, 24, v[18:19]
	s_delay_alu instid0(VALU_DEP_3) | instskip(NEXT) | instid1(VALU_DEP_1)
	v_and_b32_e32 v0, v15, v17
	v_mad_u32 v7, v0, 24, v7
	global_load_b64 v[14:15], v[6:7], off scope:SCOPE_SYS
	s_wait_xcnt 0x0
	s_wait_loadcnt 0x0
	global_atomic_cmpswap_b64 v[6:7], v1, v[14:17], s[14:15] offset:24 th:TH_ATOMIC_RETURN scope:SCOPE_SYS
	s_wait_loadcnt 0x0
	global_inv scope:SCOPE_SYS
	v_cmp_eq_u64_e32 vcc_lo, v[6:7], v[16:17]
	s_or_b32 s6, vcc_lo, s6
	s_wait_xcnt 0x0
	s_and_not1_b32 exec_lo, exec_lo, s6
	s_cbranch_execnz .LBB1_166
; %bb.167:                              ;   in Loop: Header=BB1_3 Depth=1
	s_or_b32 exec_lo, exec_lo, s6
.LBB1_168:                              ;   in Loop: Header=BB1_3 Depth=1
	s_delay_alu instid0(SALU_CYCLE_1)
	s_or_b32 exec_lo, exec_lo, s5
.LBB1_169:                              ;   in Loop: Header=BB1_3 Depth=1
	s_delay_alu instid0(SALU_CYCLE_1)
	s_or_b32 exec_lo, exec_lo, s1
	s_clause 0x1
	global_load_b64 v[18:19], v1, s[14:15] offset:40
	global_load_b128 v[14:17], v1, s[14:15]
	v_readfirstlane_b32 s16, v6
	v_readfirstlane_b32 s17, v7
	s_mov_b32 s1, exec_lo
	s_wait_loadcnt 0x1
	v_and_b32_e32 v18, s16, v18
	v_and_b32_e32 v19, s17, v19
	s_delay_alu instid0(VALU_DEP_1) | instskip(SKIP_1) | instid1(VALU_DEP_1)
	v_mul_u64_e32 v[6:7], 24, v[18:19]
	s_wait_loadcnt 0x0
	v_add_nc_u64_e32 v[6:7], v[14:15], v[6:7]
	s_wait_xcnt 0x0
	s_and_saveexec_b32 s5, s0
	s_cbranch_execz .LBB1_171
; %bb.170:                              ;   in Loop: Header=BB1_3 Depth=1
	v_mov_b32_e32 v0, s1
	global_store_b128 v[6:7], v[0:3], off offset:8
.LBB1_171:                              ;   in Loop: Header=BB1_3 Depth=1
	s_wait_xcnt 0x0
	s_or_b32 exec_lo, exec_lo, s5
	v_lshlrev_b64_e32 v[18:19], 12, v[18:19]
	s_mov_b32 s6, s4
	s_mov_b32 s7, s4
	;; [unrolled: 1-line block ×3, first 2 shown]
	v_and_or_b32 v10, 0xffffff1f, v10, 32
	v_mov_b32_e32 v13, v1
	s_delay_alu instid0(VALU_DEP_3) | instskip(SKIP_2) | instid1(VALU_DEP_3)
	v_add_nc_u64_e32 v[16:17], v[16:17], v[18:19]
	v_mov_b64_e32 v[20:21], s[6:7]
	v_mov_b64_e32 v[18:19], s[4:5]
	v_readfirstlane_b32 s18, v16
	s_delay_alu instid0(VALU_DEP_4)
	v_readfirstlane_b32 s19, v17
	s_clause 0x3
	global_store_b128 v36, v[10:13], s[18:19]
	global_store_b128 v36, v[18:21], s[18:19] offset:16
	global_store_b128 v36, v[18:21], s[18:19] offset:32
	;; [unrolled: 1-line block ×3, first 2 shown]
	s_wait_xcnt 0x0
	s_and_saveexec_b32 s1, s0
	s_cbranch_execz .LBB1_179
; %bb.172:                              ;   in Loop: Header=BB1_3 Depth=1
	s_clause 0x1
	global_load_b64 v[20:21], v1, s[14:15] offset:32 scope:SCOPE_SYS
	global_load_b64 v[10:11], v1, s[14:15] offset:40
	s_mov_b32 s5, exec_lo
	v_dual_mov_b32 v18, s16 :: v_dual_mov_b32 v19, s17
	s_wait_loadcnt 0x0
	v_and_b32_e32 v11, s17, v11
	v_and_b32_e32 v10, s16, v10
	s_delay_alu instid0(VALU_DEP_1) | instskip(NEXT) | instid1(VALU_DEP_1)
	v_mul_u64_e32 v[10:11], 24, v[10:11]
	v_add_nc_u64_e32 v[14:15], v[14:15], v[10:11]
	global_store_b64 v[14:15], v[20:21], off
	global_wb scope:SCOPE_SYS
	s_wait_storecnt 0x0
	s_wait_xcnt 0x0
	global_atomic_cmpswap_b64 v[12:13], v1, v[18:21], s[14:15] offset:32 th:TH_ATOMIC_RETURN scope:SCOPE_SYS
	s_wait_loadcnt 0x0
	v_cmpx_ne_u64_e64 v[12:13], v[20:21]
	s_cbranch_execz .LBB1_175
; %bb.173:                              ;   in Loop: Header=BB1_3 Depth=1
	s_mov_b32 s6, 0
.LBB1_174:                              ;   Parent Loop BB1_3 Depth=1
                                        ; =>  This Inner Loop Header: Depth=2
	v_dual_mov_b32 v10, s16 :: v_dual_mov_b32 v11, s17
	s_sleep 1
	global_store_b64 v[14:15], v[12:13], off
	global_wb scope:SCOPE_SYS
	s_wait_storecnt 0x0
	s_wait_xcnt 0x0
	global_atomic_cmpswap_b64 v[10:11], v1, v[10:13], s[14:15] offset:32 th:TH_ATOMIC_RETURN scope:SCOPE_SYS
	s_wait_loadcnt 0x0
	v_cmp_eq_u64_e32 vcc_lo, v[10:11], v[12:13]
	v_mov_b64_e32 v[12:13], v[10:11]
	s_or_b32 s6, vcc_lo, s6
	s_delay_alu instid0(SALU_CYCLE_1)
	s_and_not1_b32 exec_lo, exec_lo, s6
	s_cbranch_execnz .LBB1_174
.LBB1_175:                              ;   in Loop: Header=BB1_3 Depth=1
	s_or_b32 exec_lo, exec_lo, s5
	global_load_b64 v[10:11], v1, s[14:15] offset:16
	s_mov_b32 s6, exec_lo
	s_mov_b32 s5, exec_lo
	v_mbcnt_lo_u32_b32 v0, s6, 0
	s_wait_xcnt 0x0
	s_delay_alu instid0(VALU_DEP_1)
	v_cmpx_eq_u32_e32 0, v0
	s_cbranch_execz .LBB1_177
; %bb.176:                              ;   in Loop: Header=BB1_3 Depth=1
	s_bcnt1_i32_b32 s6, s6
	s_delay_alu instid0(SALU_CYCLE_1)
	v_mov_b32_e32 v0, s6
	global_wb scope:SCOPE_SYS
	s_wait_loadcnt 0x0
	s_wait_storecnt 0x0
	global_atomic_add_u64 v[10:11], v[0:1], off offset:8 scope:SCOPE_SYS
.LBB1_177:                              ;   in Loop: Header=BB1_3 Depth=1
	s_wait_xcnt 0x0
	s_or_b32 exec_lo, exec_lo, s5
	s_wait_loadcnt 0x0
	global_load_b64 v[12:13], v[10:11], off offset:16
	s_wait_loadcnt 0x0
	v_cmp_eq_u64_e32 vcc_lo, 0, v[12:13]
	s_cbranch_vccnz .LBB1_179
; %bb.178:                              ;   in Loop: Header=BB1_3 Depth=1
	global_load_b32 v0, v[10:11], off offset:24
	s_wait_loadcnt 0x0
	v_readfirstlane_b32 s5, v0
	global_wb scope:SCOPE_SYS
	s_wait_storecnt 0x0
	s_wait_xcnt 0x0
	global_store_b64 v[12:13], v[0:1], off scope:SCOPE_SYS
	s_and_b32 m0, s5, 0xffffff
	s_sendmsg sendmsg(MSG_INTERRUPT)
.LBB1_179:                              ;   in Loop: Header=BB1_3 Depth=1
	s_wait_xcnt 0x0
	s_or_b32 exec_lo, exec_lo, s1
	v_mov_b32_e32 v37, v1
	s_delay_alu instid0(VALU_DEP_1)
	v_add_nc_u64_e32 v[10:11], v[16:17], v[36:37]
	s_branch .LBB1_183
.LBB1_180:                              ;   in Loop: Header=BB1_183 Depth=2
	s_wait_xcnt 0x0
	s_or_b32 exec_lo, exec_lo, s1
	s_delay_alu instid0(VALU_DEP_1)
	v_readfirstlane_b32 s1, v0
	s_cmp_eq_u32 s1, 0
	s_cbranch_scc1 .LBB1_182
; %bb.181:                              ;   in Loop: Header=BB1_183 Depth=2
	s_sleep 1
	s_cbranch_execnz .LBB1_183
	s_branch .LBB1_185
.LBB1_182:                              ;   in Loop: Header=BB1_3 Depth=1
	s_branch .LBB1_185
.LBB1_183:                              ;   Parent Loop BB1_3 Depth=1
                                        ; =>  This Inner Loop Header: Depth=2
	v_mov_b32_e32 v0, 1
	s_and_saveexec_b32 s1, s0
	s_cbranch_execz .LBB1_180
; %bb.184:                              ;   in Loop: Header=BB1_183 Depth=2
	global_load_b32 v0, v[6:7], off offset:20 scope:SCOPE_SYS
	s_wait_loadcnt 0x0
	global_inv scope:SCOPE_SYS
	v_and_b32_e32 v0, 1, v0
	s_branch .LBB1_180
.LBB1_185:                              ;   in Loop: Header=BB1_3 Depth=1
	global_load_b64 v[6:7], v[10:11], off
	s_wait_xcnt 0x0
	s_and_saveexec_b32 s5, s0
	s_cbranch_execz .LBB1_189
; %bb.186:                              ;   in Loop: Header=BB1_3 Depth=1
	s_clause 0x2
	global_load_b64 v[10:11], v1, s[14:15] offset:40
	global_load_b64 v[18:19], v1, s[14:15] offset:24 scope:SCOPE_SYS
	global_load_b64 v[12:13], v1, s[14:15]
	s_wait_loadcnt 0x2
	v_readfirstlane_b32 s6, v10
	v_readfirstlane_b32 s7, v11
	s_add_nc_u64 s[0:1], s[6:7], 1
	s_delay_alu instid0(SALU_CYCLE_1) | instskip(NEXT) | instid1(SALU_CYCLE_1)
	s_add_nc_u64 s[16:17], s[0:1], s[16:17]
	s_cmp_eq_u64 s[16:17], 0
	s_cselect_b32 s1, s1, s17
	s_cselect_b32 s0, s0, s16
	s_delay_alu instid0(SALU_CYCLE_1) | instskip(SKIP_1) | instid1(SALU_CYCLE_1)
	v_dual_mov_b32 v17, s1 :: v_dual_mov_b32 v16, s0
	s_and_b64 s[6:7], s[0:1], s[6:7]
	s_mul_u64 s[6:7], s[6:7], 24
	s_wait_loadcnt 0x0
	v_add_nc_u64_e32 v[14:15], s[6:7], v[12:13]
	global_store_b64 v[14:15], v[18:19], off
	global_wb scope:SCOPE_SYS
	s_wait_storecnt 0x0
	s_wait_xcnt 0x0
	global_atomic_cmpswap_b64 v[12:13], v1, v[16:19], s[14:15] offset:24 th:TH_ATOMIC_RETURN scope:SCOPE_SYS
	s_wait_loadcnt 0x0
	v_cmp_ne_u64_e32 vcc_lo, v[12:13], v[18:19]
	s_and_b32 exec_lo, exec_lo, vcc_lo
	s_cbranch_execz .LBB1_189
; %bb.187:                              ;   in Loop: Header=BB1_3 Depth=1
	s_mov_b32 s6, 0
.LBB1_188:                              ;   Parent Loop BB1_3 Depth=1
                                        ; =>  This Inner Loop Header: Depth=2
	v_dual_mov_b32 v10, s0 :: v_dual_mov_b32 v11, s1
	s_sleep 1
	global_store_b64 v[14:15], v[12:13], off
	global_wb scope:SCOPE_SYS
	s_wait_storecnt 0x0
	s_wait_xcnt 0x0
	global_atomic_cmpswap_b64 v[10:11], v1, v[10:13], s[14:15] offset:24 th:TH_ATOMIC_RETURN scope:SCOPE_SYS
	s_wait_loadcnt 0x0
	v_cmp_eq_u64_e32 vcc_lo, v[10:11], v[12:13]
	v_mov_b64_e32 v[12:13], v[10:11]
	s_or_b32 s6, vcc_lo, s6
	s_delay_alu instid0(SALU_CYCLE_1)
	s_and_not1_b32 exec_lo, exec_lo, s6
	s_cbranch_execnz .LBB1_188
.LBB1_189:                              ;   in Loop: Header=BB1_3 Depth=1
	s_or_b32 exec_lo, exec_lo, s5
	v_readfirstlane_b32 s0, v41
	v_mov_b64_e32 v[14:15], 0
	s_delay_alu instid0(VALU_DEP_2)
	v_cmp_eq_u32_e64 s0, s0, v41
	s_and_saveexec_b32 s1, s0
	s_cbranch_execz .LBB1_195
; %bb.190:                              ;   in Loop: Header=BB1_3 Depth=1
	global_load_b64 v[12:13], v1, s[14:15] offset:24 scope:SCOPE_SYS
	s_wait_loadcnt 0x0
	global_inv scope:SCOPE_SYS
	s_clause 0x1
	global_load_b64 v[10:11], v1, s[14:15] offset:40
	global_load_b64 v[14:15], v1, s[14:15]
	s_mov_b32 s5, exec_lo
	s_wait_loadcnt 0x1
	v_and_b32_e32 v10, v10, v12
	v_and_b32_e32 v11, v11, v13
	s_delay_alu instid0(VALU_DEP_1) | instskip(SKIP_1) | instid1(VALU_DEP_1)
	v_mul_u64_e32 v[10:11], 24, v[10:11]
	s_wait_loadcnt 0x0
	v_add_nc_u64_e32 v[10:11], v[14:15], v[10:11]
	global_load_b64 v[10:11], v[10:11], off scope:SCOPE_SYS
	s_wait_xcnt 0x0
	s_wait_loadcnt 0x0
	global_atomic_cmpswap_b64 v[14:15], v1, v[10:13], s[14:15] offset:24 th:TH_ATOMIC_RETURN scope:SCOPE_SYS
	s_wait_loadcnt 0x0
	global_inv scope:SCOPE_SYS
	s_wait_xcnt 0x0
	v_cmpx_ne_u64_e64 v[14:15], v[12:13]
	s_cbranch_execz .LBB1_194
; %bb.191:                              ;   in Loop: Header=BB1_3 Depth=1
	s_mov_b32 s6, 0
.LBB1_192:                              ;   Parent Loop BB1_3 Depth=1
                                        ; =>  This Inner Loop Header: Depth=2
	s_sleep 1
	s_clause 0x1
	global_load_b64 v[10:11], v1, s[14:15] offset:40
	global_load_b64 v[16:17], v1, s[14:15]
	v_mov_b64_e32 v[12:13], v[14:15]
	s_wait_loadcnt 0x1
	s_delay_alu instid0(VALU_DEP_1) | instskip(SKIP_1) | instid1(VALU_DEP_1)
	v_and_b32_e32 v0, v10, v12
	s_wait_loadcnt 0x0
	v_mad_nc_u64_u32 v[14:15], v0, 24, v[16:17]
	s_delay_alu instid0(VALU_DEP_3) | instskip(NEXT) | instid1(VALU_DEP_1)
	v_and_b32_e32 v0, v11, v13
	v_mad_u32 v15, v0, 24, v15
	global_load_b64 v[10:11], v[14:15], off scope:SCOPE_SYS
	s_wait_xcnt 0x0
	s_wait_loadcnt 0x0
	global_atomic_cmpswap_b64 v[14:15], v1, v[10:13], s[14:15] offset:24 th:TH_ATOMIC_RETURN scope:SCOPE_SYS
	s_wait_loadcnt 0x0
	global_inv scope:SCOPE_SYS
	v_cmp_eq_u64_e32 vcc_lo, v[14:15], v[12:13]
	s_or_b32 s6, vcc_lo, s6
	s_wait_xcnt 0x0
	s_and_not1_b32 exec_lo, exec_lo, s6
	s_cbranch_execnz .LBB1_192
; %bb.193:                              ;   in Loop: Header=BB1_3 Depth=1
	s_or_b32 exec_lo, exec_lo, s6
.LBB1_194:                              ;   in Loop: Header=BB1_3 Depth=1
	s_delay_alu instid0(SALU_CYCLE_1)
	s_or_b32 exec_lo, exec_lo, s5
.LBB1_195:                              ;   in Loop: Header=BB1_3 Depth=1
	s_delay_alu instid0(SALU_CYCLE_1)
	s_or_b32 exec_lo, exec_lo, s1
	s_clause 0x1
	global_load_b64 v[16:17], v1, s[14:15] offset:40
	global_load_b128 v[10:13], v1, s[14:15]
	v_readfirstlane_b32 s16, v14
	v_readfirstlane_b32 s17, v15
	s_mov_b32 s1, exec_lo
	s_wait_loadcnt 0x1
	v_and_b32_e32 v16, s16, v16
	v_and_b32_e32 v17, s17, v17
	s_delay_alu instid0(VALU_DEP_1) | instskip(SKIP_1) | instid1(VALU_DEP_1)
	v_mul_u64_e32 v[14:15], 24, v[16:17]
	s_wait_loadcnt 0x0
	v_add_nc_u64_e32 v[14:15], v[10:11], v[14:15]
	s_wait_xcnt 0x0
	s_and_saveexec_b32 s5, s0
	s_cbranch_execz .LBB1_197
; %bb.196:                              ;   in Loop: Header=BB1_3 Depth=1
	v_mov_b32_e32 v0, s1
	global_store_b128 v[14:15], v[0:3], off offset:8
.LBB1_197:                              ;   in Loop: Header=BB1_3 Depth=1
	s_wait_xcnt 0x0
	s_or_b32 exec_lo, exec_lo, s5
	v_lshlrev_b64_e32 v[16:17], 12, v[16:17]
	s_mov_b32 s6, s4
	s_mov_b32 s7, s4
	;; [unrolled: 1-line block ×3, first 2 shown]
	v_and_or_b32 v6, 0xffffff1d, v6, 34
	v_mov_b32_e32 v9, v1
	s_delay_alu instid0(VALU_DEP_3) | instskip(SKIP_2) | instid1(VALU_DEP_3)
	v_add_nc_u64_e32 v[12:13], v[12:13], v[16:17]
	v_mov_b64_e32 v[18:19], s[6:7]
	v_mov_b64_e32 v[16:17], s[4:5]
	v_readfirstlane_b32 s18, v12
	s_delay_alu instid0(VALU_DEP_4)
	v_readfirstlane_b32 s19, v13
	s_clause 0x3
	global_store_b128 v36, v[6:9], s[18:19]
	global_store_b128 v36, v[16:19], s[18:19] offset:16
	global_store_b128 v36, v[16:19], s[18:19] offset:32
	;; [unrolled: 1-line block ×3, first 2 shown]
	s_wait_xcnt 0x0
	s_and_saveexec_b32 s1, s0
	s_cbranch_execz .LBB1_205
; %bb.198:                              ;   in Loop: Header=BB1_3 Depth=1
	s_clause 0x1
	global_load_b64 v[18:19], v1, s[14:15] offset:32 scope:SCOPE_SYS
	global_load_b64 v[6:7], v1, s[14:15] offset:40
	s_mov_b32 s5, exec_lo
	v_dual_mov_b32 v16, s16 :: v_dual_mov_b32 v17, s17
	s_wait_loadcnt 0x0
	v_and_b32_e32 v7, s17, v7
	v_and_b32_e32 v6, s16, v6
	s_delay_alu instid0(VALU_DEP_1) | instskip(NEXT) | instid1(VALU_DEP_1)
	v_mul_u64_e32 v[6:7], 24, v[6:7]
	v_add_nc_u64_e32 v[10:11], v[10:11], v[6:7]
	global_store_b64 v[10:11], v[18:19], off
	global_wb scope:SCOPE_SYS
	s_wait_storecnt 0x0
	s_wait_xcnt 0x0
	global_atomic_cmpswap_b64 v[8:9], v1, v[16:19], s[14:15] offset:32 th:TH_ATOMIC_RETURN scope:SCOPE_SYS
	s_wait_loadcnt 0x0
	v_cmpx_ne_u64_e64 v[8:9], v[18:19]
	s_cbranch_execz .LBB1_201
; %bb.199:                              ;   in Loop: Header=BB1_3 Depth=1
	s_mov_b32 s6, 0
.LBB1_200:                              ;   Parent Loop BB1_3 Depth=1
                                        ; =>  This Inner Loop Header: Depth=2
	v_dual_mov_b32 v6, s16 :: v_dual_mov_b32 v7, s17
	s_sleep 1
	global_store_b64 v[10:11], v[8:9], off
	global_wb scope:SCOPE_SYS
	s_wait_storecnt 0x0
	s_wait_xcnt 0x0
	global_atomic_cmpswap_b64 v[6:7], v1, v[6:9], s[14:15] offset:32 th:TH_ATOMIC_RETURN scope:SCOPE_SYS
	s_wait_loadcnt 0x0
	v_cmp_eq_u64_e32 vcc_lo, v[6:7], v[8:9]
	v_mov_b64_e32 v[8:9], v[6:7]
	s_or_b32 s6, vcc_lo, s6
	s_delay_alu instid0(SALU_CYCLE_1)
	s_and_not1_b32 exec_lo, exec_lo, s6
	s_cbranch_execnz .LBB1_200
.LBB1_201:                              ;   in Loop: Header=BB1_3 Depth=1
	s_or_b32 exec_lo, exec_lo, s5
	global_load_b64 v[6:7], v1, s[14:15] offset:16
	s_mov_b32 s6, exec_lo
	s_mov_b32 s5, exec_lo
	v_mbcnt_lo_u32_b32 v0, s6, 0
	s_wait_xcnt 0x0
	s_delay_alu instid0(VALU_DEP_1)
	v_cmpx_eq_u32_e32 0, v0
	s_cbranch_execz .LBB1_203
; %bb.202:                              ;   in Loop: Header=BB1_3 Depth=1
	s_bcnt1_i32_b32 s6, s6
	s_delay_alu instid0(SALU_CYCLE_1)
	v_mov_b32_e32 v0, s6
	global_wb scope:SCOPE_SYS
	s_wait_loadcnt 0x0
	s_wait_storecnt 0x0
	global_atomic_add_u64 v[6:7], v[0:1], off offset:8 scope:SCOPE_SYS
.LBB1_203:                              ;   in Loop: Header=BB1_3 Depth=1
	s_wait_xcnt 0x0
	s_or_b32 exec_lo, exec_lo, s5
	s_wait_loadcnt 0x0
	global_load_b64 v[8:9], v[6:7], off offset:16
	s_wait_loadcnt 0x0
	v_cmp_eq_u64_e32 vcc_lo, 0, v[8:9]
	s_cbranch_vccnz .LBB1_205
; %bb.204:                              ;   in Loop: Header=BB1_3 Depth=1
	global_load_b32 v0, v[6:7], off offset:24
	s_wait_loadcnt 0x0
	v_readfirstlane_b32 s5, v0
	global_wb scope:SCOPE_SYS
	s_wait_storecnt 0x0
	s_wait_xcnt 0x0
	global_store_b64 v[8:9], v[0:1], off scope:SCOPE_SYS
	s_and_b32 m0, s5, 0xffffff
	s_sendmsg sendmsg(MSG_INTERRUPT)
.LBB1_205:                              ;   in Loop: Header=BB1_3 Depth=1
	s_wait_xcnt 0x0
	s_or_b32 exec_lo, exec_lo, s1
	s_branch .LBB1_209
.LBB1_206:                              ;   in Loop: Header=BB1_209 Depth=2
	s_wait_xcnt 0x0
	s_or_b32 exec_lo, exec_lo, s1
	s_delay_alu instid0(VALU_DEP_1)
	v_readfirstlane_b32 s1, v0
	s_cmp_eq_u32 s1, 0
	s_cbranch_scc1 .LBB1_208
; %bb.207:                              ;   in Loop: Header=BB1_209 Depth=2
	s_sleep 1
	s_cbranch_execnz .LBB1_209
	s_branch .LBB1_211
.LBB1_208:                              ;   in Loop: Header=BB1_3 Depth=1
	s_branch .LBB1_211
.LBB1_209:                              ;   Parent Loop BB1_3 Depth=1
                                        ; =>  This Inner Loop Header: Depth=2
	v_mov_b32_e32 v0, 1
	s_and_saveexec_b32 s1, s0
	s_cbranch_execz .LBB1_206
; %bb.210:                              ;   in Loop: Header=BB1_209 Depth=2
	global_load_b32 v0, v[14:15], off offset:20 scope:SCOPE_SYS
	s_wait_loadcnt 0x0
	global_inv scope:SCOPE_SYS
	v_and_b32_e32 v0, 1, v0
	s_branch .LBB1_206
.LBB1_211:                              ;   in Loop: Header=BB1_3 Depth=1
	s_and_b32 exec_lo, exec_lo, s0
	s_cbranch_execz .LBB1_2
; %bb.212:                              ;   in Loop: Header=BB1_3 Depth=1
	s_clause 0x2
	global_load_b64 v[6:7], v1, s[14:15] offset:40
	global_load_b64 v[14:15], v1, s[14:15] offset:24 scope:SCOPE_SYS
	global_load_b64 v[8:9], v1, s[14:15]
	s_wait_loadcnt 0x2
	v_readfirstlane_b32 s6, v6
	v_readfirstlane_b32 s7, v7
	s_add_nc_u64 s[0:1], s[6:7], 1
	s_delay_alu instid0(SALU_CYCLE_1) | instskip(NEXT) | instid1(SALU_CYCLE_1)
	s_add_nc_u64 s[16:17], s[0:1], s[16:17]
	s_cmp_eq_u64 s[16:17], 0
	s_cselect_b32 s1, s1, s17
	s_cselect_b32 s0, s0, s16
	s_delay_alu instid0(SALU_CYCLE_1) | instskip(SKIP_1) | instid1(SALU_CYCLE_1)
	v_dual_mov_b32 v13, s1 :: v_dual_mov_b32 v12, s0
	s_and_b64 s[6:7], s[0:1], s[6:7]
	s_mul_u64 s[6:7], s[6:7], 24
	s_wait_loadcnt 0x0
	v_add_nc_u64_e32 v[10:11], s[6:7], v[8:9]
	global_store_b64 v[10:11], v[14:15], off
	global_wb scope:SCOPE_SYS
	s_wait_storecnt 0x0
	s_wait_xcnt 0x0
	global_atomic_cmpswap_b64 v[8:9], v1, v[12:15], s[14:15] offset:24 th:TH_ATOMIC_RETURN scope:SCOPE_SYS
	s_wait_loadcnt 0x0
	v_cmp_ne_u64_e32 vcc_lo, v[8:9], v[14:15]
	s_and_b32 exec_lo, exec_lo, vcc_lo
	s_cbranch_execz .LBB1_2
; %bb.213:                              ;   in Loop: Header=BB1_3 Depth=1
	s_mov_b32 s5, 0
.LBB1_214:                              ;   Parent Loop BB1_3 Depth=1
                                        ; =>  This Inner Loop Header: Depth=2
	v_dual_mov_b32 v6, s0 :: v_dual_mov_b32 v7, s1
	s_sleep 1
	global_store_b64 v[10:11], v[8:9], off
	global_wb scope:SCOPE_SYS
	s_wait_storecnt 0x0
	s_wait_xcnt 0x0
	global_atomic_cmpswap_b64 v[6:7], v1, v[6:9], s[14:15] offset:24 th:TH_ATOMIC_RETURN scope:SCOPE_SYS
	s_wait_loadcnt 0x0
	v_cmp_eq_u64_e32 vcc_lo, v[6:7], v[8:9]
	v_mov_b64_e32 v[8:9], v[6:7]
	s_or_b32 s5, vcc_lo, s5
	s_delay_alu instid0(SALU_CYCLE_1)
	s_and_not1_b32 exec_lo, exec_lo, s5
	s_cbranch_execnz .LBB1_214
	s_branch .LBB1_2
.LBB1_215:
	s_endpgm
	.section	.rodata,"a",@progbits
	.p2align	6, 0x0
	.amdhsa_kernel _Z10vec_verifyIiEvPT_S0_i
		.amdhsa_group_segment_fixed_size 0
		.amdhsa_private_segment_fixed_size 0
		.amdhsa_kernarg_size 272
		.amdhsa_user_sgpr_count 2
		.amdhsa_user_sgpr_dispatch_ptr 0
		.amdhsa_user_sgpr_queue_ptr 0
		.amdhsa_user_sgpr_kernarg_segment_ptr 1
		.amdhsa_user_sgpr_dispatch_id 0
		.amdhsa_user_sgpr_kernarg_preload_length 0
		.amdhsa_user_sgpr_kernarg_preload_offset 0
		.amdhsa_user_sgpr_private_segment_size 0
		.amdhsa_wavefront_size32 1
		.amdhsa_uses_dynamic_stack 0
		.amdhsa_enable_private_segment 0
		.amdhsa_system_sgpr_workgroup_id_x 1
		.amdhsa_system_sgpr_workgroup_id_y 0
		.amdhsa_system_sgpr_workgroup_id_z 0
		.amdhsa_system_sgpr_workgroup_info 0
		.amdhsa_system_vgpr_workitem_id 0
		.amdhsa_next_free_vgpr 42
		.amdhsa_next_free_sgpr 32
		.amdhsa_named_barrier_count 0
		.amdhsa_reserve_vcc 1
		.amdhsa_float_round_mode_32 0
		.amdhsa_float_round_mode_16_64 0
		.amdhsa_float_denorm_mode_32 3
		.amdhsa_float_denorm_mode_16_64 3
		.amdhsa_fp16_overflow 0
		.amdhsa_memory_ordered 1
		.amdhsa_forward_progress 1
		.amdhsa_inst_pref_size 76
		.amdhsa_round_robin_scheduling 0
		.amdhsa_exception_fp_ieee_invalid_op 0
		.amdhsa_exception_fp_denorm_src 0
		.amdhsa_exception_fp_ieee_div_zero 0
		.amdhsa_exception_fp_ieee_overflow 0
		.amdhsa_exception_fp_ieee_underflow 0
		.amdhsa_exception_fp_ieee_inexact 0
		.amdhsa_exception_int_div_zero 0
	.end_amdhsa_kernel
	.section	.text._Z10vec_verifyIiEvPT_S0_i,"axG",@progbits,_Z10vec_verifyIiEvPT_S0_i,comdat
.Lfunc_end1:
	.size	_Z10vec_verifyIiEvPT_S0_i, .Lfunc_end1-_Z10vec_verifyIiEvPT_S0_i
                                        ; -- End function
	.set _Z10vec_verifyIiEvPT_S0_i.num_vgpr, 42
	.set _Z10vec_verifyIiEvPT_S0_i.num_agpr, 0
	.set _Z10vec_verifyIiEvPT_S0_i.numbered_sgpr, 32
	.set _Z10vec_verifyIiEvPT_S0_i.num_named_barrier, 0
	.set _Z10vec_verifyIiEvPT_S0_i.private_seg_size, 0
	.set _Z10vec_verifyIiEvPT_S0_i.uses_vcc, 1
	.set _Z10vec_verifyIiEvPT_S0_i.uses_flat_scratch, 0
	.set _Z10vec_verifyIiEvPT_S0_i.has_dyn_sized_stack, 0
	.set _Z10vec_verifyIiEvPT_S0_i.has_recursion, 0
	.set _Z10vec_verifyIiEvPT_S0_i.has_indirect_call, 0
	.section	.AMDGPU.csdata,"",@progbits
; Kernel info:
; codeLenInByte = 9636
; TotalNumSgprs: 34
; NumVgprs: 42
; ScratchSize: 0
; MemoryBound: 0
; FloatMode: 240
; IeeeMode: 1
; LDSByteSize: 0 bytes/workgroup (compile time only)
; SGPRBlocks: 0
; VGPRBlocks: 2
; NumSGPRsForWavesPerEU: 34
; NumVGPRsForWavesPerEU: 42
; NamedBarCnt: 0
; Occupancy: 16
; WaveLimiterHint : 1
; COMPUTE_PGM_RSRC2:SCRATCH_EN: 0
; COMPUTE_PGM_RSRC2:USER_SGPR: 2
; COMPUTE_PGM_RSRC2:TRAP_HANDLER: 0
; COMPUTE_PGM_RSRC2:TGID_X_EN: 1
; COMPUTE_PGM_RSRC2:TGID_Y_EN: 0
; COMPUTE_PGM_RSRC2:TGID_Z_EN: 0
; COMPUTE_PGM_RSRC2:TIDIG_COMP_CNT: 0
	.section	.text._Z8vec_fillIdEvPT_S0_i,"axG",@progbits,_Z8vec_fillIdEvPT_S0_i,comdat
	.protected	_Z8vec_fillIdEvPT_S0_i  ; -- Begin function _Z8vec_fillIdEvPT_S0_i
	.globl	_Z8vec_fillIdEvPT_S0_i
	.p2align	8
	.type	_Z8vec_fillIdEvPT_S0_i,@function
_Z8vec_fillIdEvPT_S0_i:                 ; @_Z8vec_fillIdEvPT_S0_i
; %bb.0:
	s_clause 0x1
	s_load_b32 s2, s[0:1], 0x24
	s_load_b32 s8, s[0:1], 0x10
	s_bfe_u32 s3, ttmp6, 0x4000c
	s_and_b32 s4, ttmp6, 15
	s_add_co_i32 s3, s3, 1
	s_getreg_b32 s5, hwreg(HW_REG_IB_STS2, 6, 4)
	s_mul_i32 s3, ttmp9, s3
	s_mov_b32 s9, 0
	s_add_co_i32 s4, s4, s3
	s_wait_kmcnt 0x0
	s_and_b32 s2, s2, 0xffff
	s_cmp_eq_u32 s5, 0
	s_cselect_b32 s3, ttmp9, s4
	s_delay_alu instid0(SALU_CYCLE_1) | instskip(SKIP_1) | instid1(VALU_DEP_1)
	v_mad_u32 v0, s3, s2, v0
	s_mov_b32 s3, exec_lo
	v_cmpx_gt_i32_e64 s8, v0
	s_cbranch_execz .LBB2_3
; %bb.1:
	s_add_nc_u64 s[10:11], s[0:1], 24
	v_ashrrev_i32_e32 v1, 31, v0
	s_load_b32 s3, s[10:11], 0x0
	s_load_b128 s[4:7], s[0:1], 0x0
	s_wait_kmcnt 0x0
	s_mul_i32 s0, s3, s2
	v_lshl_add_u64 v[2:3], v[0:1], 3, s[4:5]
	s_ashr_i32 s1, s0, 31
	s_delay_alu instid0(SALU_CYCLE_1)
	s_lshl_b64 s[2:3], s[0:1], 3
.LBB2_2:                                ; =>This Inner Loop Header: Depth=1
	v_cvt_f64_i32_e32 v[4:5], v0
	v_add_nc_u32_e32 v0, s0, v0
	s_delay_alu instid0(VALU_DEP_1) | instskip(SKIP_1) | instid1(VALU_DEP_3)
	v_cmp_le_i32_e32 vcc_lo, s8, v0
	s_or_b32 s9, vcc_lo, s9
	v_mul_f64_e32 v[4:5], s[6:7], v[4:5]
	global_store_b64 v[2:3], v[4:5], off
	s_wait_xcnt 0x0
	v_add_nc_u64_e32 v[2:3], s[2:3], v[2:3]
	s_and_not1_b32 exec_lo, exec_lo, s9
	s_cbranch_execnz .LBB2_2
.LBB2_3:
	s_endpgm
	.section	.rodata,"a",@progbits
	.p2align	6, 0x0
	.amdhsa_kernel _Z8vec_fillIdEvPT_S0_i
		.amdhsa_group_segment_fixed_size 0
		.amdhsa_private_segment_fixed_size 0
		.amdhsa_kernarg_size 280
		.amdhsa_user_sgpr_count 2
		.amdhsa_user_sgpr_dispatch_ptr 0
		.amdhsa_user_sgpr_queue_ptr 0
		.amdhsa_user_sgpr_kernarg_segment_ptr 1
		.amdhsa_user_sgpr_dispatch_id 0
		.amdhsa_user_sgpr_kernarg_preload_length 0
		.amdhsa_user_sgpr_kernarg_preload_offset 0
		.amdhsa_user_sgpr_private_segment_size 0
		.amdhsa_wavefront_size32 1
		.amdhsa_uses_dynamic_stack 0
		.amdhsa_enable_private_segment 0
		.amdhsa_system_sgpr_workgroup_id_x 1
		.amdhsa_system_sgpr_workgroup_id_y 0
		.amdhsa_system_sgpr_workgroup_id_z 0
		.amdhsa_system_sgpr_workgroup_info 0
		.amdhsa_system_vgpr_workitem_id 0
		.amdhsa_next_free_vgpr 6
		.amdhsa_next_free_sgpr 12
		.amdhsa_named_barrier_count 0
		.amdhsa_reserve_vcc 1
		.amdhsa_float_round_mode_32 0
		.amdhsa_float_round_mode_16_64 0
		.amdhsa_float_denorm_mode_32 3
		.amdhsa_float_denorm_mode_16_64 3
		.amdhsa_fp16_overflow 0
		.amdhsa_memory_ordered 1
		.amdhsa_forward_progress 1
		.amdhsa_inst_pref_size 2
		.amdhsa_round_robin_scheduling 0
		.amdhsa_exception_fp_ieee_invalid_op 0
		.amdhsa_exception_fp_denorm_src 0
		.amdhsa_exception_fp_ieee_div_zero 0
		.amdhsa_exception_fp_ieee_overflow 0
		.amdhsa_exception_fp_ieee_underflow 0
		.amdhsa_exception_fp_ieee_inexact 0
		.amdhsa_exception_int_div_zero 0
	.end_amdhsa_kernel
	.section	.text._Z8vec_fillIdEvPT_S0_i,"axG",@progbits,_Z8vec_fillIdEvPT_S0_i,comdat
.Lfunc_end2:
	.size	_Z8vec_fillIdEvPT_S0_i, .Lfunc_end2-_Z8vec_fillIdEvPT_S0_i
                                        ; -- End function
	.set _Z8vec_fillIdEvPT_S0_i.num_vgpr, 6
	.set _Z8vec_fillIdEvPT_S0_i.num_agpr, 0
	.set _Z8vec_fillIdEvPT_S0_i.numbered_sgpr, 12
	.set _Z8vec_fillIdEvPT_S0_i.num_named_barrier, 0
	.set _Z8vec_fillIdEvPT_S0_i.private_seg_size, 0
	.set _Z8vec_fillIdEvPT_S0_i.uses_vcc, 1
	.set _Z8vec_fillIdEvPT_S0_i.uses_flat_scratch, 0
	.set _Z8vec_fillIdEvPT_S0_i.has_dyn_sized_stack, 0
	.set _Z8vec_fillIdEvPT_S0_i.has_recursion, 0
	.set _Z8vec_fillIdEvPT_S0_i.has_indirect_call, 0
	.section	.AMDGPU.csdata,"",@progbits
; Kernel info:
; codeLenInByte = 208
; TotalNumSgprs: 14
; NumVgprs: 6
; ScratchSize: 0
; MemoryBound: 0
; FloatMode: 240
; IeeeMode: 1
; LDSByteSize: 0 bytes/workgroup (compile time only)
; SGPRBlocks: 0
; VGPRBlocks: 0
; NumSGPRsForWavesPerEU: 14
; NumVGPRsForWavesPerEU: 6
; NamedBarCnt: 0
; Occupancy: 16
; WaveLimiterHint : 0
; COMPUTE_PGM_RSRC2:SCRATCH_EN: 0
; COMPUTE_PGM_RSRC2:USER_SGPR: 2
; COMPUTE_PGM_RSRC2:TRAP_HANDLER: 0
; COMPUTE_PGM_RSRC2:TGID_X_EN: 1
; COMPUTE_PGM_RSRC2:TGID_Y_EN: 0
; COMPUTE_PGM_RSRC2:TGID_Z_EN: 0
; COMPUTE_PGM_RSRC2:TIDIG_COMP_CNT: 0
	.section	.text._Z10vec_verifyIdEvPT_S0_i,"axG",@progbits,_Z10vec_verifyIdEvPT_S0_i,comdat
	.protected	_Z10vec_verifyIdEvPT_S0_i ; -- Begin function _Z10vec_verifyIdEvPT_S0_i
	.globl	_Z10vec_verifyIdEvPT_S0_i
	.p2align	8
	.type	_Z10vec_verifyIdEvPT_S0_i,@function
_Z10vec_verifyIdEvPT_S0_i:              ; @_Z10vec_verifyIdEvPT_S0_i
; %bb.0:
	s_clause 0x1
	s_load_b32 s2, s[0:1], 0x24
	s_load_b32 s24, s[0:1], 0x10
	s_bfe_u32 s3, ttmp6, 0x4000c
	s_and_b32 s4, ttmp6, 15
	s_add_co_i32 s3, s3, 1
	s_getreg_b32 s6, hwreg(HW_REG_IB_STS2, 6, 4)
	s_mul_i32 s3, ttmp9, s3
	s_delay_alu instid0(SALU_CYCLE_1)
	s_add_co_i32 s4, s4, s3
	s_wait_kmcnt 0x0
	s_and_b32 s5, s2, 0xffff
	s_cmp_eq_u32 s6, 0
	s_cselect_b32 s2, ttmp9, s4
	s_mov_b32 s4, 0
	v_mad_u32 v40, s2, s5, v0
	s_mov_b32 s2, exec_lo
	s_delay_alu instid0(VALU_DEP_1)
	v_cmpx_gt_i32_e64 s24, v40
	s_cbranch_execz .LBB3_215
; %bb.1:
	s_add_nc_u64 s[2:3], s[0:1], 24
	v_mbcnt_lo_u32_b32 v41, -1, 0
	s_load_b32 s26, s[2:3], 0x0
	s_load_b128 s[8:11], s[0:1], 0x0
	v_mov_b64_e32 v[2:3], 0x100000002
	s_get_pc_i64 s[12:13]
	s_add_nc_u64 s[12:13], s[12:13], .str@rel64+4
	v_dual_mov_b32 v1, 0 :: v_dual_mov_b32 v4, 33
	v_lshlrev_b32_e32 v36, 6, v41
	s_cmp_lg_u64 s[12:13], 0
	s_mov_b32 s27, 0
	s_cselect_b32 s25, -1, 0
	s_wait_kmcnt 0x0
	s_mul_i32 s26, s26, s5
	s_branch .LBB3_3
.LBB3_2:                                ;   in Loop: Header=BB3_3 Depth=1
	s_or_b32 exec_lo, exec_lo, s28
	v_add_nc_u32_e32 v40, s26, v40
	s_delay_alu instid0(VALU_DEP_1) | instskip(SKIP_1) | instid1(SALU_CYCLE_1)
	v_cmp_le_i32_e32 vcc_lo, s24, v40
	s_or_b32 s27, vcc_lo, s27
	s_and_not1_b32 exec_lo, exec_lo, s27
	s_cbranch_execz .LBB3_215
.LBB3_3:                                ; =>This Loop Header: Depth=1
                                        ;     Child Loop BB3_7 Depth 2
                                        ;     Child Loop BB3_15 Depth 2
	;; [unrolled: 1-line block ×9, first 2 shown]
                                        ;       Child Loop BB3_36 Depth 3
                                        ;       Child Loop BB3_43 Depth 3
	;; [unrolled: 1-line block ×11, first 2 shown]
                                        ;     Child Loop BB3_140 Depth 2
                                        ;     Child Loop BB3_148 Depth 2
                                        ;     Child Loop BB3_157 Depth 2
                                        ;     Child Loop BB3_162 Depth 2
                                        ;     Child Loop BB3_166 Depth 2
                                        ;     Child Loop BB3_174 Depth 2
                                        ;     Child Loop BB3_183 Depth 2
                                        ;     Child Loop BB3_188 Depth 2
                                        ;     Child Loop BB3_192 Depth 2
                                        ;     Child Loop BB3_200 Depth 2
                                        ;     Child Loop BB3_209 Depth 2
                                        ;     Child Loop BB3_214 Depth 2
	global_load_b64 v[12:13], v40, s[8:9] scale_offset
	v_cvt_f64_i32_e32 v[6:7], v40
	s_mov_b32 s28, exec_lo
	s_delay_alu instid0(VALU_DEP_1) | instskip(SKIP_2) | instid1(VALU_DEP_1)
	v_mul_f64_e32 v[8:9], s[10:11], v[6:7]
	s_wait_loadcnt 0x0
	s_wait_xcnt 0x0
	v_cmpx_neq_f64_e32 v[12:13], v[8:9]
	s_cbranch_execz .LBB3_2
; %bb.4:                                ;   in Loop: Header=BB3_3 Depth=1
	s_load_b64 s[14:15], s[2:3], 0x50
	v_readfirstlane_b32 s0, v41
	v_mov_b64_e32 v[6:7], 0
	s_delay_alu instid0(VALU_DEP_2)
	v_cmp_eq_u32_e64 s0, s0, v41
	s_and_saveexec_b32 s1, s0
	s_cbranch_execz .LBB3_10
; %bb.5:                                ;   in Loop: Header=BB3_3 Depth=1
	s_wait_kmcnt 0x0
	global_load_b64 v[16:17], v1, s[14:15] offset:24 scope:SCOPE_SYS
	s_wait_loadcnt 0x0
	global_inv scope:SCOPE_SYS
	s_clause 0x1
	global_load_b64 v[6:7], v1, s[14:15] offset:40
	global_load_b64 v[10:11], v1, s[14:15]
	s_mov_b32 s5, exec_lo
	s_wait_loadcnt 0x1
	v_and_b32_e32 v6, v6, v16
	v_and_b32_e32 v7, v7, v17
	s_delay_alu instid0(VALU_DEP_1) | instskip(SKIP_1) | instid1(VALU_DEP_1)
	v_mul_u64_e32 v[6:7], 24, v[6:7]
	s_wait_loadcnt 0x0
	v_add_nc_u64_e32 v[6:7], v[10:11], v[6:7]
	global_load_b64 v[14:15], v[6:7], off scope:SCOPE_SYS
	s_wait_xcnt 0x0
	s_wait_loadcnt 0x0
	global_atomic_cmpswap_b64 v[6:7], v1, v[14:17], s[14:15] offset:24 th:TH_ATOMIC_RETURN scope:SCOPE_SYS
	s_wait_loadcnt 0x0
	global_inv scope:SCOPE_SYS
	s_wait_xcnt 0x0
	v_cmpx_ne_u64_e64 v[6:7], v[16:17]
	s_cbranch_execz .LBB3_9
; %bb.6:                                ;   in Loop: Header=BB3_3 Depth=1
	s_mov_b32 s6, 0
.LBB3_7:                                ;   Parent Loop BB3_3 Depth=1
                                        ; =>  This Inner Loop Header: Depth=2
	s_sleep 1
	s_clause 0x1
	global_load_b64 v[10:11], v1, s[14:15] offset:40
	global_load_b64 v[14:15], v1, s[14:15]
	v_mov_b64_e32 v[16:17], v[6:7]
	s_wait_loadcnt 0x1
	s_delay_alu instid0(VALU_DEP_1) | instskip(SKIP_1) | instid1(VALU_DEP_1)
	v_and_b32_e32 v0, v10, v16
	s_wait_loadcnt 0x0
	v_mad_nc_u64_u32 v[6:7], v0, 24, v[14:15]
	s_delay_alu instid0(VALU_DEP_3) | instskip(NEXT) | instid1(VALU_DEP_1)
	v_and_b32_e32 v0, v11, v17
	v_mad_u32 v7, v0, 24, v7
	global_load_b64 v[14:15], v[6:7], off scope:SCOPE_SYS
	s_wait_xcnt 0x0
	s_wait_loadcnt 0x0
	global_atomic_cmpswap_b64 v[6:7], v1, v[14:17], s[14:15] offset:24 th:TH_ATOMIC_RETURN scope:SCOPE_SYS
	s_wait_loadcnt 0x0
	global_inv scope:SCOPE_SYS
	v_cmp_eq_u64_e32 vcc_lo, v[6:7], v[16:17]
	s_or_b32 s6, vcc_lo, s6
	s_wait_xcnt 0x0
	s_and_not1_b32 exec_lo, exec_lo, s6
	s_cbranch_execnz .LBB3_7
; %bb.8:                                ;   in Loop: Header=BB3_3 Depth=1
	s_or_b32 exec_lo, exec_lo, s6
.LBB3_9:                                ;   in Loop: Header=BB3_3 Depth=1
	s_delay_alu instid0(SALU_CYCLE_1)
	s_or_b32 exec_lo, exec_lo, s5
.LBB3_10:                               ;   in Loop: Header=BB3_3 Depth=1
	s_delay_alu instid0(SALU_CYCLE_1)
	s_or_b32 exec_lo, exec_lo, s1
	s_wait_kmcnt 0x0
	s_clause 0x1
	global_load_b64 v[10:11], v1, s[14:15] offset:40
	global_load_b128 v[14:17], v1, s[14:15]
	v_readfirstlane_b32 s16, v6
	v_readfirstlane_b32 s17, v7
	s_mov_b32 s1, exec_lo
	s_wait_loadcnt 0x1
	v_and_b32_e32 v6, s16, v10
	v_and_b32_e32 v7, s17, v11
	s_delay_alu instid0(VALU_DEP_1) | instskip(SKIP_1) | instid1(VALU_DEP_1)
	v_mul_u64_e32 v[10:11], 24, v[6:7]
	s_wait_loadcnt 0x0
	v_add_nc_u64_e32 v[10:11], v[14:15], v[10:11]
	s_wait_xcnt 0x0
	s_and_saveexec_b32 s5, s0
	s_cbranch_execz .LBB3_12
; %bb.11:                               ;   in Loop: Header=BB3_3 Depth=1
	v_mov_b32_e32 v0, s1
	global_store_b128 v[10:11], v[0:3], off offset:8
.LBB3_12:                               ;   in Loop: Header=BB3_3 Depth=1
	s_wait_xcnt 0x0
	s_or_b32 exec_lo, exec_lo, s5
	v_lshlrev_b64_e32 v[6:7], 12, v[6:7]
	s_mov_b32 s6, s4
	s_mov_b32 s7, s4
	;; [unrolled: 1-line block ×3, first 2 shown]
	v_mov_b64_e32 v[22:23], s[6:7]
	v_mov_b64_e32 v[20:21], s[4:5]
	v_mov_b32_e32 v5, v1
	v_add_nc_u64_e32 v[18:19], v[16:17], v[6:7]
	v_dual_mov_b32 v6, v1 :: v_dual_mov_b32 v7, v1
	s_delay_alu instid0(VALU_DEP_2) | instskip(NEXT) | instid1(VALU_DEP_3)
	v_readfirstlane_b32 s18, v18
	v_readfirstlane_b32 s19, v19
	s_clause 0x3
	global_store_b128 v36, v[4:7], s[18:19]
	global_store_b128 v36, v[20:23], s[18:19] offset:16
	global_store_b128 v36, v[20:23], s[18:19] offset:32
	;; [unrolled: 1-line block ×3, first 2 shown]
	s_wait_xcnt 0x0
	s_and_saveexec_b32 s1, s0
	s_cbranch_execz .LBB3_20
; %bb.13:                               ;   in Loop: Header=BB3_3 Depth=1
	s_clause 0x1
	global_load_b64 v[22:23], v1, s[14:15] offset:32 scope:SCOPE_SYS
	global_load_b64 v[6:7], v1, s[14:15] offset:40
	s_mov_b32 s5, exec_lo
	v_dual_mov_b32 v20, s16 :: v_dual_mov_b32 v21, s17
	s_wait_loadcnt 0x0
	v_and_b32_e32 v7, s17, v7
	v_and_b32_e32 v6, s16, v6
	s_delay_alu instid0(VALU_DEP_1) | instskip(NEXT) | instid1(VALU_DEP_1)
	v_mul_u64_e32 v[6:7], 24, v[6:7]
	v_add_nc_u64_e32 v[6:7], v[14:15], v[6:7]
	global_store_b64 v[6:7], v[22:23], off
	global_wb scope:SCOPE_SYS
	s_wait_storecnt 0x0
	s_wait_xcnt 0x0
	global_atomic_cmpswap_b64 v[16:17], v1, v[20:23], s[14:15] offset:32 th:TH_ATOMIC_RETURN scope:SCOPE_SYS
	s_wait_loadcnt 0x0
	v_cmpx_ne_u64_e64 v[16:17], v[22:23]
	s_cbranch_execz .LBB3_16
; %bb.14:                               ;   in Loop: Header=BB3_3 Depth=1
	s_mov_b32 s6, 0
.LBB3_15:                               ;   Parent Loop BB3_3 Depth=1
                                        ; =>  This Inner Loop Header: Depth=2
	v_dual_mov_b32 v14, s16 :: v_dual_mov_b32 v15, s17
	s_sleep 1
	global_store_b64 v[6:7], v[16:17], off
	global_wb scope:SCOPE_SYS
	s_wait_storecnt 0x0
	s_wait_xcnt 0x0
	global_atomic_cmpswap_b64 v[14:15], v1, v[14:17], s[14:15] offset:32 th:TH_ATOMIC_RETURN scope:SCOPE_SYS
	s_wait_loadcnt 0x0
	v_cmp_eq_u64_e32 vcc_lo, v[14:15], v[16:17]
	v_mov_b64_e32 v[16:17], v[14:15]
	s_or_b32 s6, vcc_lo, s6
	s_delay_alu instid0(SALU_CYCLE_1)
	s_and_not1_b32 exec_lo, exec_lo, s6
	s_cbranch_execnz .LBB3_15
.LBB3_16:                               ;   in Loop: Header=BB3_3 Depth=1
	s_or_b32 exec_lo, exec_lo, s5
	global_load_b64 v[6:7], v1, s[14:15] offset:16
	s_mov_b32 s6, exec_lo
	s_mov_b32 s5, exec_lo
	v_mbcnt_lo_u32_b32 v0, s6, 0
	s_wait_xcnt 0x0
	s_delay_alu instid0(VALU_DEP_1)
	v_cmpx_eq_u32_e32 0, v0
	s_cbranch_execz .LBB3_18
; %bb.17:                               ;   in Loop: Header=BB3_3 Depth=1
	s_bcnt1_i32_b32 s6, s6
	s_delay_alu instid0(SALU_CYCLE_1)
	v_mov_b32_e32 v0, s6
	global_wb scope:SCOPE_SYS
	s_wait_loadcnt 0x0
	s_wait_storecnt 0x0
	global_atomic_add_u64 v[6:7], v[0:1], off offset:8 scope:SCOPE_SYS
.LBB3_18:                               ;   in Loop: Header=BB3_3 Depth=1
	s_wait_xcnt 0x0
	s_or_b32 exec_lo, exec_lo, s5
	s_wait_loadcnt 0x0
	global_load_b64 v[14:15], v[6:7], off offset:16
	s_wait_loadcnt 0x0
	v_cmp_eq_u64_e32 vcc_lo, 0, v[14:15]
	s_cbranch_vccnz .LBB3_20
; %bb.19:                               ;   in Loop: Header=BB3_3 Depth=1
	global_load_b32 v0, v[6:7], off offset:24
	s_wait_loadcnt 0x0
	v_readfirstlane_b32 s5, v0
	global_wb scope:SCOPE_SYS
	s_wait_storecnt 0x0
	s_wait_xcnt 0x0
	global_store_b64 v[14:15], v[0:1], off scope:SCOPE_SYS
	s_and_b32 m0, s5, 0xffffff
	s_sendmsg sendmsg(MSG_INTERRUPT)
.LBB3_20:                               ;   in Loop: Header=BB3_3 Depth=1
	s_wait_xcnt 0x0
	s_or_b32 exec_lo, exec_lo, s1
	v_mov_b32_e32 v37, v1
	s_delay_alu instid0(VALU_DEP_1)
	v_add_nc_u64_e32 v[6:7], v[18:19], v[36:37]
	s_branch .LBB3_24
.LBB3_21:                               ;   in Loop: Header=BB3_24 Depth=2
	s_wait_xcnt 0x0
	s_or_b32 exec_lo, exec_lo, s1
	s_delay_alu instid0(VALU_DEP_1)
	v_readfirstlane_b32 s1, v0
	s_cmp_eq_u32 s1, 0
	s_cbranch_scc1 .LBB3_23
; %bb.22:                               ;   in Loop: Header=BB3_24 Depth=2
	s_sleep 1
	s_cbranch_execnz .LBB3_24
	s_branch .LBB3_26
.LBB3_23:                               ;   in Loop: Header=BB3_3 Depth=1
	s_branch .LBB3_26
.LBB3_24:                               ;   Parent Loop BB3_3 Depth=1
                                        ; =>  This Inner Loop Header: Depth=2
	v_mov_b32_e32 v0, 1
	s_and_saveexec_b32 s1, s0
	s_cbranch_execz .LBB3_21
; %bb.25:                               ;   in Loop: Header=BB3_24 Depth=2
	global_load_b32 v0, v[10:11], off offset:20 scope:SCOPE_SYS
	s_wait_loadcnt 0x0
	global_inv scope:SCOPE_SYS
	v_and_b32_e32 v0, 1, v0
	s_branch .LBB3_21
.LBB3_26:                               ;   in Loop: Header=BB3_3 Depth=1
	global_load_b64 v[14:15], v[6:7], off
	s_wait_xcnt 0x0
	s_and_saveexec_b32 s5, s0
	s_cbranch_execz .LBB3_30
; %bb.27:                               ;   in Loop: Header=BB3_3 Depth=1
	s_clause 0x2
	global_load_b64 v[6:7], v1, s[14:15] offset:40
	global_load_b64 v[20:21], v1, s[14:15] offset:24 scope:SCOPE_SYS
	global_load_b64 v[10:11], v1, s[14:15]
	s_wait_loadcnt 0x2
	v_readfirstlane_b32 s6, v6
	v_readfirstlane_b32 s7, v7
	s_add_nc_u64 s[0:1], s[6:7], 1
	s_delay_alu instid0(SALU_CYCLE_1) | instskip(NEXT) | instid1(SALU_CYCLE_1)
	s_add_nc_u64 s[16:17], s[0:1], s[16:17]
	s_cmp_eq_u64 s[16:17], 0
	s_cselect_b32 s1, s1, s17
	s_cselect_b32 s0, s0, s16
	s_delay_alu instid0(SALU_CYCLE_1) | instskip(SKIP_1) | instid1(SALU_CYCLE_1)
	v_dual_mov_b32 v19, s1 :: v_dual_mov_b32 v18, s0
	s_and_b64 s[6:7], s[0:1], s[6:7]
	s_mul_u64 s[6:7], s[6:7], 24
	s_wait_loadcnt 0x0
	v_add_nc_u64_e32 v[6:7], s[6:7], v[10:11]
	global_store_b64 v[6:7], v[20:21], off
	global_wb scope:SCOPE_SYS
	s_wait_storecnt 0x0
	s_wait_xcnt 0x0
	global_atomic_cmpswap_b64 v[18:19], v1, v[18:21], s[14:15] offset:24 th:TH_ATOMIC_RETURN scope:SCOPE_SYS
	s_wait_loadcnt 0x0
	v_cmp_ne_u64_e32 vcc_lo, v[18:19], v[20:21]
	s_and_b32 exec_lo, exec_lo, vcc_lo
	s_cbranch_execz .LBB3_30
; %bb.28:                               ;   in Loop: Header=BB3_3 Depth=1
	s_mov_b32 s6, 0
.LBB3_29:                               ;   Parent Loop BB3_3 Depth=1
                                        ; =>  This Inner Loop Header: Depth=2
	v_dual_mov_b32 v16, s0 :: v_dual_mov_b32 v17, s1
	s_sleep 1
	global_store_b64 v[6:7], v[18:19], off
	global_wb scope:SCOPE_SYS
	s_wait_storecnt 0x0
	s_wait_xcnt 0x0
	global_atomic_cmpswap_b64 v[10:11], v1, v[16:19], s[14:15] offset:24 th:TH_ATOMIC_RETURN scope:SCOPE_SYS
	s_wait_loadcnt 0x0
	v_cmp_eq_u64_e32 vcc_lo, v[10:11], v[18:19]
	v_mov_b64_e32 v[18:19], v[10:11]
	s_or_b32 s6, vcc_lo, s6
	s_delay_alu instid0(SALU_CYCLE_1)
	s_and_not1_b32 exec_lo, exec_lo, s6
	s_cbranch_execnz .LBB3_29
.LBB3_30:                               ;   in Loop: Header=BB3_3 Depth=1
	s_or_b32 exec_lo, exec_lo, s5
	s_delay_alu instid0(SALU_CYCLE_1)
	s_and_b32 vcc_lo, exec_lo, s25
	s_cbranch_vccz .LBB3_109
; %bb.31:                               ;   in Loop: Header=BB3_3 Depth=1
	s_wait_loadcnt 0x0
	v_dual_mov_b32 v17, v15 :: v_dual_bitop2_b32 v6, 2, v14 bitop3:0x40
	v_and_b32_e32 v16, -3, v14
	s_mov_b64 s[6:7], 35
	s_mov_b64 s[16:17], s[12:13]
	s_branch .LBB3_33
.LBB3_32:                               ;   in Loop: Header=BB3_33 Depth=2
	s_or_b32 exec_lo, exec_lo, s5
	s_sub_nc_u64 s[6:7], s[6:7], s[18:19]
	s_add_nc_u64 s[16:17], s[16:17], s[18:19]
	s_cmp_lg_u64 s[6:7], 0
	s_cbranch_scc0 .LBB3_108
.LBB3_33:                               ;   Parent Loop BB3_3 Depth=1
                                        ; =>  This Loop Header: Depth=2
                                        ;       Child Loop BB3_36 Depth 3
                                        ;       Child Loop BB3_43 Depth 3
	;; [unrolled: 1-line block ×11, first 2 shown]
	v_min_u64 v[10:11], s[6:7], 56
	v_cmp_gt_u64_e64 s0, s[6:7], 7
	s_and_b32 vcc_lo, exec_lo, s0
	v_readfirstlane_b32 s18, v10
	v_readfirstlane_b32 s19, v11
	s_cbranch_vccnz .LBB3_38
; %bb.34:                               ;   in Loop: Header=BB3_33 Depth=2
	v_mov_b64_e32 v[18:19], 0
	s_cmp_eq_u64 s[6:7], 0
	s_cbranch_scc1 .LBB3_37
; %bb.35:                               ;   in Loop: Header=BB3_33 Depth=2
	s_mov_b64 s[0:1], 0
	s_mov_b64 s[20:21], 0
.LBB3_36:                               ;   Parent Loop BB3_3 Depth=1
                                        ;     Parent Loop BB3_33 Depth=2
                                        ; =>    This Inner Loop Header: Depth=3
	s_wait_xcnt 0x0
	s_add_nc_u64 s[22:23], s[16:17], s[20:21]
	s_add_nc_u64 s[20:21], s[20:21], 1
	global_load_u8 v0, v1, s[22:23]
	s_cmp_lg_u32 s18, s20
	s_wait_loadcnt 0x0
	v_and_b32_e32 v0, 0xffff, v0
	s_delay_alu instid0(VALU_DEP_1) | instskip(SKIP_1) | instid1(VALU_DEP_1)
	v_lshlrev_b64_e32 v[10:11], s0, v[0:1]
	s_add_nc_u64 s[0:1], s[0:1], 8
	v_or_b32_e32 v18, v10, v18
	s_delay_alu instid0(VALU_DEP_2)
	v_or_b32_e32 v19, v11, v19
	s_cbranch_scc1 .LBB3_36
.LBB3_37:                               ;   in Loop: Header=BB3_33 Depth=2
	s_mov_b64 s[0:1], s[16:17]
	s_mov_b32 s5, 0
	s_cbranch_execz .LBB3_39
	s_branch .LBB3_40
.LBB3_38:                               ;   in Loop: Header=BB3_33 Depth=2
	s_add_nc_u64 s[0:1], s[16:17], 8
	s_mov_b32 s5, 0
.LBB3_39:                               ;   in Loop: Header=BB3_33 Depth=2
	global_load_b64 v[18:19], v1, s[16:17]
	s_add_co_i32 s5, s18, -8
.LBB3_40:                               ;   in Loop: Header=BB3_33 Depth=2
	s_delay_alu instid0(SALU_CYCLE_1)
	s_cmp_gt_u32 s5, 7
	s_cbranch_scc1 .LBB3_45
; %bb.41:                               ;   in Loop: Header=BB3_33 Depth=2
	v_mov_b64_e32 v[20:21], 0
	s_cmp_eq_u32 s5, 0
	s_cbranch_scc1 .LBB3_44
; %bb.42:                               ;   in Loop: Header=BB3_33 Depth=2
	s_mov_b64 s[20:21], 0
	s_wait_xcnt 0x0
	s_mov_b64 s[22:23], 0
.LBB3_43:                               ;   Parent Loop BB3_3 Depth=1
                                        ;     Parent Loop BB3_33 Depth=2
                                        ; =>    This Inner Loop Header: Depth=3
	s_wait_xcnt 0x0
	s_add_nc_u64 s[30:31], s[0:1], s[22:23]
	s_add_nc_u64 s[22:23], s[22:23], 1
	global_load_u8 v0, v1, s[30:31]
	s_cmp_lg_u32 s5, s22
	s_wait_loadcnt 0x0
	v_and_b32_e32 v0, 0xffff, v0
	s_delay_alu instid0(VALU_DEP_1) | instskip(SKIP_1) | instid1(VALU_DEP_1)
	v_lshlrev_b64_e32 v[10:11], s20, v[0:1]
	s_add_nc_u64 s[20:21], s[20:21], 8
	v_or_b32_e32 v20, v10, v20
	s_delay_alu instid0(VALU_DEP_2)
	v_or_b32_e32 v21, v11, v21
	s_cbranch_scc1 .LBB3_43
.LBB3_44:                               ;   in Loop: Header=BB3_33 Depth=2
	s_wait_xcnt 0x0
	s_mov_b64 s[20:21], s[0:1]
	s_mov_b32 s29, 0
	s_cbranch_execz .LBB3_46
	s_branch .LBB3_47
.LBB3_45:                               ;   in Loop: Header=BB3_33 Depth=2
	s_add_nc_u64 s[20:21], s[0:1], 8
	s_wait_xcnt 0x0
                                        ; implicit-def: $vgpr20_vgpr21
	s_mov_b32 s29, 0
.LBB3_46:                               ;   in Loop: Header=BB3_33 Depth=2
	global_load_b64 v[20:21], v1, s[0:1]
	s_add_co_i32 s29, s5, -8
.LBB3_47:                               ;   in Loop: Header=BB3_33 Depth=2
	s_delay_alu instid0(SALU_CYCLE_1)
	s_cmp_gt_u32 s29, 7
	s_cbranch_scc1 .LBB3_52
; %bb.48:                               ;   in Loop: Header=BB3_33 Depth=2
	v_mov_b64_e32 v[22:23], 0
	s_cmp_eq_u32 s29, 0
	s_cbranch_scc1 .LBB3_51
; %bb.49:                               ;   in Loop: Header=BB3_33 Depth=2
	s_wait_xcnt 0x0
	s_mov_b64 s[0:1], 0
	s_mov_b64 s[22:23], 0
.LBB3_50:                               ;   Parent Loop BB3_3 Depth=1
                                        ;     Parent Loop BB3_33 Depth=2
                                        ; =>    This Inner Loop Header: Depth=3
	s_wait_xcnt 0x0
	s_add_nc_u64 s[30:31], s[20:21], s[22:23]
	s_add_nc_u64 s[22:23], s[22:23], 1
	global_load_u8 v0, v1, s[30:31]
	s_cmp_lg_u32 s29, s22
	s_wait_loadcnt 0x0
	v_and_b32_e32 v0, 0xffff, v0
	s_delay_alu instid0(VALU_DEP_1) | instskip(SKIP_1) | instid1(VALU_DEP_1)
	v_lshlrev_b64_e32 v[10:11], s0, v[0:1]
	s_add_nc_u64 s[0:1], s[0:1], 8
	v_or_b32_e32 v22, v10, v22
	s_delay_alu instid0(VALU_DEP_2)
	v_or_b32_e32 v23, v11, v23
	s_cbranch_scc1 .LBB3_50
.LBB3_51:                               ;   in Loop: Header=BB3_33 Depth=2
	s_wait_xcnt 0x0
	s_mov_b64 s[0:1], s[20:21]
	s_mov_b32 s5, 0
	s_cbranch_execz .LBB3_53
	s_branch .LBB3_54
.LBB3_52:                               ;   in Loop: Header=BB3_33 Depth=2
	s_wait_xcnt 0x0
	s_add_nc_u64 s[0:1], s[20:21], 8
	s_mov_b32 s5, 0
.LBB3_53:                               ;   in Loop: Header=BB3_33 Depth=2
	global_load_b64 v[22:23], v1, s[20:21]
	s_add_co_i32 s5, s29, -8
.LBB3_54:                               ;   in Loop: Header=BB3_33 Depth=2
	s_delay_alu instid0(SALU_CYCLE_1)
	s_cmp_gt_u32 s5, 7
	s_cbranch_scc1 .LBB3_59
; %bb.55:                               ;   in Loop: Header=BB3_33 Depth=2
	v_mov_b64_e32 v[24:25], 0
	s_cmp_eq_u32 s5, 0
	s_cbranch_scc1 .LBB3_58
; %bb.56:                               ;   in Loop: Header=BB3_33 Depth=2
	s_wait_xcnt 0x0
	s_mov_b64 s[20:21], 0
	s_mov_b64 s[22:23], 0
.LBB3_57:                               ;   Parent Loop BB3_3 Depth=1
                                        ;     Parent Loop BB3_33 Depth=2
                                        ; =>    This Inner Loop Header: Depth=3
	s_wait_xcnt 0x0
	s_add_nc_u64 s[30:31], s[0:1], s[22:23]
	s_add_nc_u64 s[22:23], s[22:23], 1
	global_load_u8 v0, v1, s[30:31]
	s_cmp_lg_u32 s5, s22
	s_wait_loadcnt 0x0
	v_and_b32_e32 v0, 0xffff, v0
	s_delay_alu instid0(VALU_DEP_1) | instskip(SKIP_1) | instid1(VALU_DEP_1)
	v_lshlrev_b64_e32 v[10:11], s20, v[0:1]
	s_add_nc_u64 s[20:21], s[20:21], 8
	v_or_b32_e32 v24, v10, v24
	s_delay_alu instid0(VALU_DEP_2)
	v_or_b32_e32 v25, v11, v25
	s_cbranch_scc1 .LBB3_57
.LBB3_58:                               ;   in Loop: Header=BB3_33 Depth=2
	s_wait_xcnt 0x0
	s_mov_b64 s[20:21], s[0:1]
	s_mov_b32 s29, 0
	s_cbranch_execz .LBB3_60
	s_branch .LBB3_61
.LBB3_59:                               ;   in Loop: Header=BB3_33 Depth=2
	s_wait_xcnt 0x0
	s_add_nc_u64 s[20:21], s[0:1], 8
                                        ; implicit-def: $vgpr24_vgpr25
	s_mov_b32 s29, 0
.LBB3_60:                               ;   in Loop: Header=BB3_33 Depth=2
	global_load_b64 v[24:25], v1, s[0:1]
	s_add_co_i32 s29, s5, -8
.LBB3_61:                               ;   in Loop: Header=BB3_33 Depth=2
	s_delay_alu instid0(SALU_CYCLE_1)
	s_cmp_gt_u32 s29, 7
	s_cbranch_scc1 .LBB3_66
; %bb.62:                               ;   in Loop: Header=BB3_33 Depth=2
	v_mov_b64_e32 v[26:27], 0
	s_cmp_eq_u32 s29, 0
	s_cbranch_scc1 .LBB3_65
; %bb.63:                               ;   in Loop: Header=BB3_33 Depth=2
	s_wait_xcnt 0x0
	s_mov_b64 s[0:1], 0
	s_mov_b64 s[22:23], 0
.LBB3_64:                               ;   Parent Loop BB3_3 Depth=1
                                        ;     Parent Loop BB3_33 Depth=2
                                        ; =>    This Inner Loop Header: Depth=3
	s_wait_xcnt 0x0
	s_add_nc_u64 s[30:31], s[20:21], s[22:23]
	s_add_nc_u64 s[22:23], s[22:23], 1
	global_load_u8 v0, v1, s[30:31]
	s_cmp_lg_u32 s29, s22
	s_wait_loadcnt 0x0
	v_and_b32_e32 v0, 0xffff, v0
	s_delay_alu instid0(VALU_DEP_1) | instskip(SKIP_1) | instid1(VALU_DEP_1)
	v_lshlrev_b64_e32 v[10:11], s0, v[0:1]
	s_add_nc_u64 s[0:1], s[0:1], 8
	v_or_b32_e32 v26, v10, v26
	s_delay_alu instid0(VALU_DEP_2)
	v_or_b32_e32 v27, v11, v27
	s_cbranch_scc1 .LBB3_64
.LBB3_65:                               ;   in Loop: Header=BB3_33 Depth=2
	s_wait_xcnt 0x0
	s_mov_b64 s[0:1], s[20:21]
	s_mov_b32 s5, 0
	s_cbranch_execz .LBB3_67
	s_branch .LBB3_68
.LBB3_66:                               ;   in Loop: Header=BB3_33 Depth=2
	s_wait_xcnt 0x0
	s_add_nc_u64 s[0:1], s[20:21], 8
	s_mov_b32 s5, 0
.LBB3_67:                               ;   in Loop: Header=BB3_33 Depth=2
	global_load_b64 v[26:27], v1, s[20:21]
	s_add_co_i32 s5, s29, -8
.LBB3_68:                               ;   in Loop: Header=BB3_33 Depth=2
	s_delay_alu instid0(SALU_CYCLE_1)
	s_cmp_gt_u32 s5, 7
	s_cbranch_scc1 .LBB3_73
; %bb.69:                               ;   in Loop: Header=BB3_33 Depth=2
	v_mov_b64_e32 v[28:29], 0
	s_cmp_eq_u32 s5, 0
	s_cbranch_scc1 .LBB3_72
; %bb.70:                               ;   in Loop: Header=BB3_33 Depth=2
	s_wait_xcnt 0x0
	s_mov_b64 s[20:21], 0
	s_mov_b64 s[22:23], 0
.LBB3_71:                               ;   Parent Loop BB3_3 Depth=1
                                        ;     Parent Loop BB3_33 Depth=2
                                        ; =>    This Inner Loop Header: Depth=3
	s_wait_xcnt 0x0
	s_add_nc_u64 s[30:31], s[0:1], s[22:23]
	s_add_nc_u64 s[22:23], s[22:23], 1
	global_load_u8 v0, v1, s[30:31]
	s_cmp_lg_u32 s5, s22
	s_wait_loadcnt 0x0
	v_and_b32_e32 v0, 0xffff, v0
	s_delay_alu instid0(VALU_DEP_1) | instskip(SKIP_1) | instid1(VALU_DEP_1)
	v_lshlrev_b64_e32 v[10:11], s20, v[0:1]
	s_add_nc_u64 s[20:21], s[20:21], 8
	v_or_b32_e32 v28, v10, v28
	s_delay_alu instid0(VALU_DEP_2)
	v_or_b32_e32 v29, v11, v29
	s_cbranch_scc1 .LBB3_71
.LBB3_72:                               ;   in Loop: Header=BB3_33 Depth=2
	s_wait_xcnt 0x0
	s_mov_b64 s[20:21], s[0:1]
	s_mov_b32 s29, 0
	s_cbranch_execz .LBB3_74
	s_branch .LBB3_75
.LBB3_73:                               ;   in Loop: Header=BB3_33 Depth=2
	s_wait_xcnt 0x0
	s_add_nc_u64 s[20:21], s[0:1], 8
                                        ; implicit-def: $vgpr28_vgpr29
	s_mov_b32 s29, 0
.LBB3_74:                               ;   in Loop: Header=BB3_33 Depth=2
	global_load_b64 v[28:29], v1, s[0:1]
	s_add_co_i32 s29, s5, -8
.LBB3_75:                               ;   in Loop: Header=BB3_33 Depth=2
	s_delay_alu instid0(SALU_CYCLE_1)
	s_cmp_gt_u32 s29, 7
	s_cbranch_scc1 .LBB3_80
; %bb.76:                               ;   in Loop: Header=BB3_33 Depth=2
	v_mov_b64_e32 v[30:31], 0
	s_cmp_eq_u32 s29, 0
	s_cbranch_scc1 .LBB3_79
; %bb.77:                               ;   in Loop: Header=BB3_33 Depth=2
	s_wait_xcnt 0x0
	s_mov_b64 s[0:1], 0
	s_mov_b64 s[22:23], s[20:21]
.LBB3_78:                               ;   Parent Loop BB3_3 Depth=1
                                        ;     Parent Loop BB3_33 Depth=2
                                        ; =>    This Inner Loop Header: Depth=3
	global_load_u8 v0, v1, s[22:23]
	s_add_co_i32 s29, s29, -1
	s_wait_xcnt 0x0
	s_add_nc_u64 s[22:23], s[22:23], 1
	s_cmp_lg_u32 s29, 0
	s_wait_loadcnt 0x0
	v_and_b32_e32 v0, 0xffff, v0
	s_delay_alu instid0(VALU_DEP_1) | instskip(SKIP_1) | instid1(VALU_DEP_1)
	v_lshlrev_b64_e32 v[10:11], s0, v[0:1]
	s_add_nc_u64 s[0:1], s[0:1], 8
	v_or_b32_e32 v30, v10, v30
	s_delay_alu instid0(VALU_DEP_2)
	v_or_b32_e32 v31, v11, v31
	s_cbranch_scc1 .LBB3_78
.LBB3_79:                               ;   in Loop: Header=BB3_33 Depth=2
	s_wait_xcnt 0x0
	s_cbranch_execz .LBB3_81
	s_branch .LBB3_82
.LBB3_80:                               ;   in Loop: Header=BB3_33 Depth=2
	s_wait_xcnt 0x0
.LBB3_81:                               ;   in Loop: Header=BB3_33 Depth=2
	global_load_b64 v[30:31], v1, s[20:21]
.LBB3_82:                               ;   in Loop: Header=BB3_33 Depth=2
	v_readfirstlane_b32 s0, v41
	v_mov_b64_e32 v[10:11], 0
	s_delay_alu instid0(VALU_DEP_2)
	v_cmp_eq_u32_e64 s0, s0, v41
	s_wait_xcnt 0x0
	s_and_saveexec_b32 s1, s0
	s_cbranch_execz .LBB3_88
; %bb.83:                               ;   in Loop: Header=BB3_33 Depth=2
	global_load_b64 v[34:35], v1, s[14:15] offset:24 scope:SCOPE_SYS
	s_wait_loadcnt 0x0
	global_inv scope:SCOPE_SYS
	s_clause 0x1
	global_load_b64 v[10:11], v1, s[14:15] offset:40
	global_load_b64 v[32:33], v1, s[14:15]
	s_mov_b32 s5, exec_lo
	s_wait_loadcnt 0x1
	v_and_b32_e32 v10, v10, v34
	v_and_b32_e32 v11, v11, v35
	s_delay_alu instid0(VALU_DEP_1) | instskip(SKIP_1) | instid1(VALU_DEP_1)
	v_mul_u64_e32 v[10:11], 24, v[10:11]
	s_wait_loadcnt 0x0
	v_add_nc_u64_e32 v[10:11], v[32:33], v[10:11]
	global_load_b64 v[32:33], v[10:11], off scope:SCOPE_SYS
	s_wait_xcnt 0x0
	s_wait_loadcnt 0x0
	global_atomic_cmpswap_b64 v[10:11], v1, v[32:35], s[14:15] offset:24 th:TH_ATOMIC_RETURN scope:SCOPE_SYS
	s_wait_loadcnt 0x0
	global_inv scope:SCOPE_SYS
	s_wait_xcnt 0x0
	v_cmpx_ne_u64_e64 v[10:11], v[34:35]
	s_cbranch_execz .LBB3_87
; %bb.84:                               ;   in Loop: Header=BB3_33 Depth=2
	s_mov_b32 s20, 0
.LBB3_85:                               ;   Parent Loop BB3_3 Depth=1
                                        ;     Parent Loop BB3_33 Depth=2
                                        ; =>    This Inner Loop Header: Depth=3
	s_sleep 1
	s_clause 0x1
	global_load_b64 v[32:33], v1, s[14:15] offset:40
	global_load_b64 v[38:39], v1, s[14:15]
	v_mov_b64_e32 v[34:35], v[10:11]
	s_wait_loadcnt 0x1
	s_delay_alu instid0(VALU_DEP_1) | instskip(SKIP_1) | instid1(VALU_DEP_1)
	v_and_b32_e32 v0, v32, v34
	s_wait_loadcnt 0x0
	v_mad_nc_u64_u32 v[10:11], v0, 24, v[38:39]
	s_delay_alu instid0(VALU_DEP_3) | instskip(NEXT) | instid1(VALU_DEP_1)
	v_and_b32_e32 v0, v33, v35
	v_mad_u32 v11, v0, 24, v11
	global_load_b64 v[32:33], v[10:11], off scope:SCOPE_SYS
	s_wait_xcnt 0x0
	s_wait_loadcnt 0x0
	global_atomic_cmpswap_b64 v[10:11], v1, v[32:35], s[14:15] offset:24 th:TH_ATOMIC_RETURN scope:SCOPE_SYS
	s_wait_loadcnt 0x0
	global_inv scope:SCOPE_SYS
	v_cmp_eq_u64_e32 vcc_lo, v[10:11], v[34:35]
	s_or_b32 s20, vcc_lo, s20
	s_wait_xcnt 0x0
	s_and_not1_b32 exec_lo, exec_lo, s20
	s_cbranch_execnz .LBB3_85
; %bb.86:                               ;   in Loop: Header=BB3_33 Depth=2
	s_or_b32 exec_lo, exec_lo, s20
.LBB3_87:                               ;   in Loop: Header=BB3_33 Depth=2
	s_delay_alu instid0(SALU_CYCLE_1)
	s_or_b32 exec_lo, exec_lo, s5
.LBB3_88:                               ;   in Loop: Header=BB3_33 Depth=2
	s_delay_alu instid0(SALU_CYCLE_1)
	s_or_b32 exec_lo, exec_lo, s1
	s_clause 0x1
	global_load_b64 v[38:39], v1, s[14:15] offset:40
	global_load_b128 v[32:35], v1, s[14:15]
	v_readfirstlane_b32 s20, v10
	v_readfirstlane_b32 s21, v11
	s_mov_b32 s1, exec_lo
	s_wait_loadcnt 0x1
	v_and_b32_e32 v38, s20, v38
	v_and_b32_e32 v39, s21, v39
	s_delay_alu instid0(VALU_DEP_1) | instskip(SKIP_1) | instid1(VALU_DEP_1)
	v_mul_u64_e32 v[10:11], 24, v[38:39]
	s_wait_loadcnt 0x0
	v_add_nc_u64_e32 v[10:11], v[32:33], v[10:11]
	s_wait_xcnt 0x0
	s_and_saveexec_b32 s5, s0
	s_cbranch_execz .LBB3_90
; %bb.89:                               ;   in Loop: Header=BB3_33 Depth=2
	v_mov_b32_e32 v0, s1
	global_store_b128 v[10:11], v[0:3], off offset:8
.LBB3_90:                               ;   in Loop: Header=BB3_33 Depth=2
	s_wait_xcnt 0x0
	s_or_b32 exec_lo, exec_lo, s5
	v_cmp_lt_u64_e64 vcc_lo, s[6:7], 57
	v_lshlrev_b64_e32 v[38:39], 12, v[38:39]
	v_and_b32_e32 v5, 0xffffff1f, v16
	s_lshl_b32 s1, s18, 2
	s_delay_alu instid0(SALU_CYCLE_1) | instskip(SKIP_1) | instid1(VALU_DEP_3)
	s_add_co_i32 s1, s1, 28
	v_cndmask_b32_e32 v0, 0, v6, vcc_lo
	v_add_nc_u64_e32 v[34:35], v[34:35], v[38:39]
	s_delay_alu instid0(VALU_DEP_2) | instskip(NEXT) | instid1(VALU_DEP_2)
	v_or_b32_e32 v0, v5, v0
	v_readfirstlane_b32 s22, v34
	s_delay_alu instid0(VALU_DEP_3) | instskip(NEXT) | instid1(VALU_DEP_3)
	v_readfirstlane_b32 s23, v35
	v_and_or_b32 v16, 0x1e0, s1, v0
	s_clause 0x3
	global_store_b128 v36, v[16:19], s[22:23]
	global_store_b128 v36, v[20:23], s[22:23] offset:16
	global_store_b128 v36, v[24:27], s[22:23] offset:32
	global_store_b128 v36, v[28:31], s[22:23] offset:48
	s_wait_xcnt 0x0
	s_and_saveexec_b32 s1, s0
	s_cbranch_execz .LBB3_98
; %bb.91:                               ;   in Loop: Header=BB3_33 Depth=2
	s_clause 0x1
	global_load_b64 v[24:25], v1, s[14:15] offset:32 scope:SCOPE_SYS
	global_load_b64 v[16:17], v1, s[14:15] offset:40
	s_mov_b32 s5, exec_lo
	v_dual_mov_b32 v22, s20 :: v_dual_mov_b32 v23, s21
	s_wait_loadcnt 0x0
	v_and_b32_e32 v17, s21, v17
	v_and_b32_e32 v16, s20, v16
	s_delay_alu instid0(VALU_DEP_1) | instskip(NEXT) | instid1(VALU_DEP_1)
	v_mul_u64_e32 v[16:17], 24, v[16:17]
	v_add_nc_u64_e32 v[20:21], v[32:33], v[16:17]
	global_store_b64 v[20:21], v[24:25], off
	global_wb scope:SCOPE_SYS
	s_wait_storecnt 0x0
	s_wait_xcnt 0x0
	global_atomic_cmpswap_b64 v[18:19], v1, v[22:25], s[14:15] offset:32 th:TH_ATOMIC_RETURN scope:SCOPE_SYS
	s_wait_loadcnt 0x0
	v_cmpx_ne_u64_e64 v[18:19], v[24:25]
	s_cbranch_execz .LBB3_94
; %bb.92:                               ;   in Loop: Header=BB3_33 Depth=2
	s_mov_b32 s22, 0
.LBB3_93:                               ;   Parent Loop BB3_3 Depth=1
                                        ;     Parent Loop BB3_33 Depth=2
                                        ; =>    This Inner Loop Header: Depth=3
	v_dual_mov_b32 v16, s20 :: v_dual_mov_b32 v17, s21
	s_sleep 1
	global_store_b64 v[20:21], v[18:19], off
	global_wb scope:SCOPE_SYS
	s_wait_storecnt 0x0
	s_wait_xcnt 0x0
	global_atomic_cmpswap_b64 v[16:17], v1, v[16:19], s[14:15] offset:32 th:TH_ATOMIC_RETURN scope:SCOPE_SYS
	s_wait_loadcnt 0x0
	v_cmp_eq_u64_e32 vcc_lo, v[16:17], v[18:19]
	v_mov_b64_e32 v[18:19], v[16:17]
	s_or_b32 s22, vcc_lo, s22
	s_delay_alu instid0(SALU_CYCLE_1)
	s_and_not1_b32 exec_lo, exec_lo, s22
	s_cbranch_execnz .LBB3_93
.LBB3_94:                               ;   in Loop: Header=BB3_33 Depth=2
	s_or_b32 exec_lo, exec_lo, s5
	global_load_b64 v[16:17], v1, s[14:15] offset:16
	s_mov_b32 s22, exec_lo
	s_mov_b32 s5, exec_lo
	v_mbcnt_lo_u32_b32 v0, s22, 0
	s_wait_xcnt 0x0
	s_delay_alu instid0(VALU_DEP_1)
	v_cmpx_eq_u32_e32 0, v0
	s_cbranch_execz .LBB3_96
; %bb.95:                               ;   in Loop: Header=BB3_33 Depth=2
	s_bcnt1_i32_b32 s22, s22
	s_delay_alu instid0(SALU_CYCLE_1)
	v_mov_b32_e32 v0, s22
	global_wb scope:SCOPE_SYS
	s_wait_loadcnt 0x0
	s_wait_storecnt 0x0
	global_atomic_add_u64 v[16:17], v[0:1], off offset:8 scope:SCOPE_SYS
.LBB3_96:                               ;   in Loop: Header=BB3_33 Depth=2
	s_wait_xcnt 0x0
	s_or_b32 exec_lo, exec_lo, s5
	s_wait_loadcnt 0x0
	global_load_b64 v[18:19], v[16:17], off offset:16
	s_wait_loadcnt 0x0
	v_cmp_eq_u64_e32 vcc_lo, 0, v[18:19]
	s_cbranch_vccnz .LBB3_98
; %bb.97:                               ;   in Loop: Header=BB3_33 Depth=2
	global_load_b32 v0, v[16:17], off offset:24
	s_wait_loadcnt 0x0
	v_readfirstlane_b32 s5, v0
	global_wb scope:SCOPE_SYS
	s_wait_storecnt 0x0
	s_wait_xcnt 0x0
	global_store_b64 v[18:19], v[0:1], off scope:SCOPE_SYS
	s_and_b32 m0, s5, 0xffffff
	s_sendmsg sendmsg(MSG_INTERRUPT)
.LBB3_98:                               ;   in Loop: Header=BB3_33 Depth=2
	s_wait_xcnt 0x0
	s_or_b32 exec_lo, exec_lo, s1
	v_mov_b32_e32 v37, v1
	s_delay_alu instid0(VALU_DEP_1)
	v_add_nc_u64_e32 v[16:17], v[34:35], v[36:37]
	s_branch .LBB3_102
.LBB3_99:                               ;   in Loop: Header=BB3_102 Depth=3
	s_wait_xcnt 0x0
	s_or_b32 exec_lo, exec_lo, s1
	s_delay_alu instid0(VALU_DEP_1)
	v_readfirstlane_b32 s1, v0
	s_cmp_eq_u32 s1, 0
	s_cbranch_scc1 .LBB3_101
; %bb.100:                              ;   in Loop: Header=BB3_102 Depth=3
	s_sleep 1
	s_cbranch_execnz .LBB3_102
	s_branch .LBB3_104
.LBB3_101:                              ;   in Loop: Header=BB3_33 Depth=2
	s_branch .LBB3_104
.LBB3_102:                              ;   Parent Loop BB3_3 Depth=1
                                        ;     Parent Loop BB3_33 Depth=2
                                        ; =>    This Inner Loop Header: Depth=3
	v_mov_b32_e32 v0, 1
	s_and_saveexec_b32 s1, s0
	s_cbranch_execz .LBB3_99
; %bb.103:                              ;   in Loop: Header=BB3_102 Depth=3
	global_load_b32 v0, v[10:11], off offset:20 scope:SCOPE_SYS
	s_wait_loadcnt 0x0
	global_inv scope:SCOPE_SYS
	v_and_b32_e32 v0, 1, v0
	s_branch .LBB3_99
.LBB3_104:                              ;   in Loop: Header=BB3_33 Depth=2
	global_load_b64 v[16:17], v[16:17], off
	s_wait_xcnt 0x0
	s_and_saveexec_b32 s5, s0
	s_cbranch_execz .LBB3_32
; %bb.105:                              ;   in Loop: Header=BB3_33 Depth=2
	s_clause 0x2
	global_load_b64 v[10:11], v1, s[14:15] offset:40
	global_load_b64 v[22:23], v1, s[14:15] offset:24 scope:SCOPE_SYS
	global_load_b64 v[18:19], v1, s[14:15]
	s_wait_loadcnt 0x2
	v_readfirstlane_b32 s22, v10
	v_readfirstlane_b32 s23, v11
	s_add_nc_u64 s[0:1], s[22:23], 1
	s_delay_alu instid0(SALU_CYCLE_1) | instskip(NEXT) | instid1(SALU_CYCLE_1)
	s_add_nc_u64 s[20:21], s[0:1], s[20:21]
	s_cmp_eq_u64 s[20:21], 0
	s_cselect_b32 s1, s1, s21
	s_cselect_b32 s0, s0, s20
	s_delay_alu instid0(SALU_CYCLE_1) | instskip(SKIP_1) | instid1(SALU_CYCLE_1)
	v_dual_mov_b32 v21, s1 :: v_dual_mov_b32 v20, s0
	s_and_b64 s[20:21], s[0:1], s[22:23]
	s_mul_u64 s[20:21], s[20:21], 24
	s_wait_loadcnt 0x0
	v_add_nc_u64_e32 v[10:11], s[20:21], v[18:19]
	global_store_b64 v[10:11], v[22:23], off
	global_wb scope:SCOPE_SYS
	s_wait_storecnt 0x0
	s_wait_xcnt 0x0
	global_atomic_cmpswap_b64 v[20:21], v1, v[20:23], s[14:15] offset:24 th:TH_ATOMIC_RETURN scope:SCOPE_SYS
	s_wait_loadcnt 0x0
	v_cmp_ne_u64_e32 vcc_lo, v[20:21], v[22:23]
	s_and_b32 exec_lo, exec_lo, vcc_lo
	s_cbranch_execz .LBB3_32
; %bb.106:                              ;   in Loop: Header=BB3_33 Depth=2
	s_mov_b32 s20, 0
.LBB3_107:                              ;   Parent Loop BB3_3 Depth=1
                                        ;     Parent Loop BB3_33 Depth=2
                                        ; =>    This Inner Loop Header: Depth=3
	v_dual_mov_b32 v18, s0 :: v_dual_mov_b32 v19, s1
	s_sleep 1
	global_store_b64 v[10:11], v[20:21], off
	global_wb scope:SCOPE_SYS
	s_wait_storecnt 0x0
	s_wait_xcnt 0x0
	global_atomic_cmpswap_b64 v[18:19], v1, v[18:21], s[14:15] offset:24 th:TH_ATOMIC_RETURN scope:SCOPE_SYS
	s_wait_loadcnt 0x0
	v_cmp_eq_u64_e32 vcc_lo, v[18:19], v[20:21]
	v_mov_b64_e32 v[20:21], v[18:19]
	s_or_b32 s20, vcc_lo, s20
	s_delay_alu instid0(SALU_CYCLE_1)
	s_and_not1_b32 exec_lo, exec_lo, s20
	s_cbranch_execnz .LBB3_107
	s_branch .LBB3_32
.LBB3_108:                              ;   in Loop: Header=BB3_3 Depth=1
	s_branch .LBB3_137
.LBB3_109:                              ;   in Loop: Header=BB3_3 Depth=1
                                        ; implicit-def: $vgpr16_vgpr17
	s_cbranch_execz .LBB3_137
; %bb.110:                              ;   in Loop: Header=BB3_3 Depth=1
	v_readfirstlane_b32 s0, v41
	v_mov_b64_e32 v[6:7], 0
	s_delay_alu instid0(VALU_DEP_2)
	v_cmp_eq_u32_e64 s0, s0, v41
	s_and_saveexec_b32 s1, s0
	s_cbranch_execz .LBB3_116
; %bb.111:                              ;   in Loop: Header=BB3_3 Depth=1
	global_load_b64 v[18:19], v1, s[14:15] offset:24 scope:SCOPE_SYS
	s_wait_loadcnt 0x0
	global_inv scope:SCOPE_SYS
	s_clause 0x1
	global_load_b64 v[6:7], v1, s[14:15] offset:40
	global_load_b64 v[10:11], v1, s[14:15]
	s_mov_b32 s5, exec_lo
	s_wait_loadcnt 0x1
	v_and_b32_e32 v6, v6, v18
	v_and_b32_e32 v7, v7, v19
	s_delay_alu instid0(VALU_DEP_1) | instskip(SKIP_1) | instid1(VALU_DEP_1)
	v_mul_u64_e32 v[6:7], 24, v[6:7]
	s_wait_loadcnt 0x0
	v_add_nc_u64_e32 v[6:7], v[10:11], v[6:7]
	global_load_b64 v[16:17], v[6:7], off scope:SCOPE_SYS
	s_wait_xcnt 0x0
	s_wait_loadcnt 0x0
	global_atomic_cmpswap_b64 v[6:7], v1, v[16:19], s[14:15] offset:24 th:TH_ATOMIC_RETURN scope:SCOPE_SYS
	s_wait_loadcnt 0x0
	global_inv scope:SCOPE_SYS
	s_wait_xcnt 0x0
	v_cmpx_ne_u64_e64 v[6:7], v[18:19]
	s_cbranch_execz .LBB3_115
; %bb.112:                              ;   in Loop: Header=BB3_3 Depth=1
	s_mov_b32 s6, 0
.LBB3_113:                              ;   Parent Loop BB3_3 Depth=1
                                        ; =>  This Inner Loop Header: Depth=2
	s_sleep 1
	s_clause 0x1
	global_load_b64 v[10:11], v1, s[14:15] offset:40
	global_load_b64 v[16:17], v1, s[14:15]
	v_mov_b64_e32 v[18:19], v[6:7]
	s_wait_loadcnt 0x1
	s_delay_alu instid0(VALU_DEP_1) | instskip(SKIP_1) | instid1(VALU_DEP_1)
	v_and_b32_e32 v0, v10, v18
	s_wait_loadcnt 0x0
	v_mad_nc_u64_u32 v[6:7], v0, 24, v[16:17]
	s_delay_alu instid0(VALU_DEP_3) | instskip(NEXT) | instid1(VALU_DEP_1)
	v_and_b32_e32 v0, v11, v19
	v_mad_u32 v7, v0, 24, v7
	global_load_b64 v[16:17], v[6:7], off scope:SCOPE_SYS
	s_wait_xcnt 0x0
	s_wait_loadcnt 0x0
	global_atomic_cmpswap_b64 v[6:7], v1, v[16:19], s[14:15] offset:24 th:TH_ATOMIC_RETURN scope:SCOPE_SYS
	s_wait_loadcnt 0x0
	global_inv scope:SCOPE_SYS
	v_cmp_eq_u64_e32 vcc_lo, v[6:7], v[18:19]
	s_or_b32 s6, vcc_lo, s6
	s_wait_xcnt 0x0
	s_and_not1_b32 exec_lo, exec_lo, s6
	s_cbranch_execnz .LBB3_113
; %bb.114:                              ;   in Loop: Header=BB3_3 Depth=1
	s_or_b32 exec_lo, exec_lo, s6
.LBB3_115:                              ;   in Loop: Header=BB3_3 Depth=1
	s_delay_alu instid0(SALU_CYCLE_1)
	s_or_b32 exec_lo, exec_lo, s5
.LBB3_116:                              ;   in Loop: Header=BB3_3 Depth=1
	s_delay_alu instid0(SALU_CYCLE_1)
	s_or_b32 exec_lo, exec_lo, s1
	s_clause 0x1
	global_load_b64 v[10:11], v1, s[14:15] offset:40
	global_load_b128 v[18:21], v1, s[14:15]
	v_readfirstlane_b32 s16, v6
	v_readfirstlane_b32 s17, v7
	s_mov_b32 s1, exec_lo
	s_wait_loadcnt 0x1
	v_and_b32_e32 v10, s16, v10
	v_and_b32_e32 v11, s17, v11
	s_delay_alu instid0(VALU_DEP_1) | instskip(SKIP_1) | instid1(VALU_DEP_1)
	v_mul_u64_e32 v[6:7], 24, v[10:11]
	s_wait_loadcnt 0x0
	v_add_nc_u64_e32 v[6:7], v[18:19], v[6:7]
	s_wait_xcnt 0x0
	s_and_saveexec_b32 s5, s0
	s_cbranch_execz .LBB3_118
; %bb.117:                              ;   in Loop: Header=BB3_3 Depth=1
	v_mov_b32_e32 v0, s1
	global_store_b128 v[6:7], v[0:3], off offset:8
.LBB3_118:                              ;   in Loop: Header=BB3_3 Depth=1
	s_wait_xcnt 0x0
	s_or_b32 exec_lo, exec_lo, s5
	v_lshlrev_b64_e32 v[10:11], 12, v[10:11]
	s_mov_b32 s6, s4
	s_mov_b32 s7, s4
	;; [unrolled: 1-line block ×3, first 2 shown]
	v_and_or_b32 v14, 0xffffff1f, v14, 32
	v_dual_mov_b32 v16, v1 :: v_dual_mov_b32 v17, v1
	s_delay_alu instid0(VALU_DEP_3) | instskip(SKIP_2) | instid1(VALU_DEP_3)
	v_add_nc_u64_e32 v[10:11], v[20:21], v[10:11]
	v_mov_b64_e32 v[22:23], s[6:7]
	v_mov_b64_e32 v[20:21], s[4:5]
	v_readfirstlane_b32 s18, v10
	s_delay_alu instid0(VALU_DEP_4)
	v_readfirstlane_b32 s19, v11
	s_clause 0x3
	global_store_b128 v36, v[14:17], s[18:19]
	global_store_b128 v36, v[20:23], s[18:19] offset:16
	global_store_b128 v36, v[20:23], s[18:19] offset:32
	global_store_b128 v36, v[20:23], s[18:19] offset:48
	s_wait_xcnt 0x0
	s_and_saveexec_b32 s1, s0
	s_cbranch_execz .LBB3_126
; %bb.119:                              ;   in Loop: Header=BB3_3 Depth=1
	s_clause 0x1
	global_load_b64 v[22:23], v1, s[14:15] offset:32 scope:SCOPE_SYS
	global_load_b64 v[14:15], v1, s[14:15] offset:40
	s_mov_b32 s5, exec_lo
	v_dual_mov_b32 v20, s16 :: v_dual_mov_b32 v21, s17
	s_wait_loadcnt 0x0
	v_and_b32_e32 v15, s17, v15
	v_and_b32_e32 v14, s16, v14
	s_delay_alu instid0(VALU_DEP_1) | instskip(NEXT) | instid1(VALU_DEP_1)
	v_mul_u64_e32 v[14:15], 24, v[14:15]
	v_add_nc_u64_e32 v[18:19], v[18:19], v[14:15]
	global_store_b64 v[18:19], v[22:23], off
	global_wb scope:SCOPE_SYS
	s_wait_storecnt 0x0
	s_wait_xcnt 0x0
	global_atomic_cmpswap_b64 v[16:17], v1, v[20:23], s[14:15] offset:32 th:TH_ATOMIC_RETURN scope:SCOPE_SYS
	s_wait_loadcnt 0x0
	v_cmpx_ne_u64_e64 v[16:17], v[22:23]
	s_cbranch_execz .LBB3_122
; %bb.120:                              ;   in Loop: Header=BB3_3 Depth=1
	s_mov_b32 s6, 0
.LBB3_121:                              ;   Parent Loop BB3_3 Depth=1
                                        ; =>  This Inner Loop Header: Depth=2
	v_dual_mov_b32 v14, s16 :: v_dual_mov_b32 v15, s17
	s_sleep 1
	global_store_b64 v[18:19], v[16:17], off
	global_wb scope:SCOPE_SYS
	s_wait_storecnt 0x0
	s_wait_xcnt 0x0
	global_atomic_cmpswap_b64 v[14:15], v1, v[14:17], s[14:15] offset:32 th:TH_ATOMIC_RETURN scope:SCOPE_SYS
	s_wait_loadcnt 0x0
	v_cmp_eq_u64_e32 vcc_lo, v[14:15], v[16:17]
	v_mov_b64_e32 v[16:17], v[14:15]
	s_or_b32 s6, vcc_lo, s6
	s_delay_alu instid0(SALU_CYCLE_1)
	s_and_not1_b32 exec_lo, exec_lo, s6
	s_cbranch_execnz .LBB3_121
.LBB3_122:                              ;   in Loop: Header=BB3_3 Depth=1
	s_or_b32 exec_lo, exec_lo, s5
	global_load_b64 v[14:15], v1, s[14:15] offset:16
	s_mov_b32 s6, exec_lo
	s_mov_b32 s5, exec_lo
	v_mbcnt_lo_u32_b32 v0, s6, 0
	s_wait_xcnt 0x0
	s_delay_alu instid0(VALU_DEP_1)
	v_cmpx_eq_u32_e32 0, v0
	s_cbranch_execz .LBB3_124
; %bb.123:                              ;   in Loop: Header=BB3_3 Depth=1
	s_bcnt1_i32_b32 s6, s6
	s_delay_alu instid0(SALU_CYCLE_1)
	v_mov_b32_e32 v0, s6
	global_wb scope:SCOPE_SYS
	s_wait_loadcnt 0x0
	s_wait_storecnt 0x0
	global_atomic_add_u64 v[14:15], v[0:1], off offset:8 scope:SCOPE_SYS
.LBB3_124:                              ;   in Loop: Header=BB3_3 Depth=1
	s_wait_xcnt 0x0
	s_or_b32 exec_lo, exec_lo, s5
	s_wait_loadcnt 0x0
	global_load_b64 v[16:17], v[14:15], off offset:16
	s_wait_loadcnt 0x0
	v_cmp_eq_u64_e32 vcc_lo, 0, v[16:17]
	s_cbranch_vccnz .LBB3_126
; %bb.125:                              ;   in Loop: Header=BB3_3 Depth=1
	global_load_b32 v0, v[14:15], off offset:24
	s_wait_loadcnt 0x0
	v_readfirstlane_b32 s5, v0
	global_wb scope:SCOPE_SYS
	s_wait_storecnt 0x0
	s_wait_xcnt 0x0
	global_store_b64 v[16:17], v[0:1], off scope:SCOPE_SYS
	s_and_b32 m0, s5, 0xffffff
	s_sendmsg sendmsg(MSG_INTERRUPT)
.LBB3_126:                              ;   in Loop: Header=BB3_3 Depth=1
	s_wait_xcnt 0x0
	s_or_b32 exec_lo, exec_lo, s1
	v_mov_b32_e32 v37, v1
	s_delay_alu instid0(VALU_DEP_1)
	v_add_nc_u64_e32 v[10:11], v[10:11], v[36:37]
	s_branch .LBB3_130
.LBB3_127:                              ;   in Loop: Header=BB3_130 Depth=2
	s_wait_xcnt 0x0
	s_or_b32 exec_lo, exec_lo, s1
	s_delay_alu instid0(VALU_DEP_1)
	v_readfirstlane_b32 s1, v0
	s_cmp_eq_u32 s1, 0
	s_cbranch_scc1 .LBB3_129
; %bb.128:                              ;   in Loop: Header=BB3_130 Depth=2
	s_sleep 1
	s_cbranch_execnz .LBB3_130
	s_branch .LBB3_132
.LBB3_129:                              ;   in Loop: Header=BB3_3 Depth=1
	s_branch .LBB3_132
.LBB3_130:                              ;   Parent Loop BB3_3 Depth=1
                                        ; =>  This Inner Loop Header: Depth=2
	v_mov_b32_e32 v0, 1
	s_and_saveexec_b32 s1, s0
	s_cbranch_execz .LBB3_127
; %bb.131:                              ;   in Loop: Header=BB3_130 Depth=2
	global_load_b32 v0, v[6:7], off offset:20 scope:SCOPE_SYS
	s_wait_loadcnt 0x0
	global_inv scope:SCOPE_SYS
	v_and_b32_e32 v0, 1, v0
	s_branch .LBB3_127
.LBB3_132:                              ;   in Loop: Header=BB3_3 Depth=1
	global_load_b64 v[16:17], v[10:11], off
	s_wait_xcnt 0x0
	s_and_saveexec_b32 s5, s0
	s_cbranch_execz .LBB3_136
; %bb.133:                              ;   in Loop: Header=BB3_3 Depth=1
	s_clause 0x2
	global_load_b64 v[6:7], v1, s[14:15] offset:40
	global_load_b64 v[22:23], v1, s[14:15] offset:24 scope:SCOPE_SYS
	global_load_b64 v[10:11], v1, s[14:15]
	s_wait_loadcnt 0x2
	v_readfirstlane_b32 s6, v6
	v_readfirstlane_b32 s7, v7
	s_add_nc_u64 s[0:1], s[6:7], 1
	s_delay_alu instid0(SALU_CYCLE_1) | instskip(NEXT) | instid1(SALU_CYCLE_1)
	s_add_nc_u64 s[16:17], s[0:1], s[16:17]
	s_cmp_eq_u64 s[16:17], 0
	s_cselect_b32 s1, s1, s17
	s_cselect_b32 s0, s0, s16
	s_delay_alu instid0(SALU_CYCLE_1) | instskip(SKIP_1) | instid1(SALU_CYCLE_1)
	v_dual_mov_b32 v21, s1 :: v_dual_mov_b32 v20, s0
	s_and_b64 s[6:7], s[0:1], s[6:7]
	s_mul_u64 s[6:7], s[6:7], 24
	s_wait_loadcnt 0x0
	v_add_nc_u64_e32 v[6:7], s[6:7], v[10:11]
	global_store_b64 v[6:7], v[22:23], off
	global_wb scope:SCOPE_SYS
	s_wait_storecnt 0x0
	s_wait_xcnt 0x0
	global_atomic_cmpswap_b64 v[20:21], v1, v[20:23], s[14:15] offset:24 th:TH_ATOMIC_RETURN scope:SCOPE_SYS
	s_wait_loadcnt 0x0
	v_cmp_ne_u64_e32 vcc_lo, v[20:21], v[22:23]
	s_and_b32 exec_lo, exec_lo, vcc_lo
	s_cbranch_execz .LBB3_136
; %bb.134:                              ;   in Loop: Header=BB3_3 Depth=1
	s_mov_b32 s6, 0
.LBB3_135:                              ;   Parent Loop BB3_3 Depth=1
                                        ; =>  This Inner Loop Header: Depth=2
	v_dual_mov_b32 v18, s0 :: v_dual_mov_b32 v19, s1
	s_sleep 1
	global_store_b64 v[6:7], v[20:21], off
	global_wb scope:SCOPE_SYS
	s_wait_storecnt 0x0
	s_wait_xcnt 0x0
	global_atomic_cmpswap_b64 v[10:11], v1, v[18:21], s[14:15] offset:24 th:TH_ATOMIC_RETURN scope:SCOPE_SYS
	s_wait_loadcnt 0x0
	v_cmp_eq_u64_e32 vcc_lo, v[10:11], v[20:21]
	v_mov_b64_e32 v[20:21], v[10:11]
	s_or_b32 s6, vcc_lo, s6
	s_delay_alu instid0(SALU_CYCLE_1)
	s_and_not1_b32 exec_lo, exec_lo, s6
	s_cbranch_execnz .LBB3_135
.LBB3_136:                              ;   in Loop: Header=BB3_3 Depth=1
	s_or_b32 exec_lo, exec_lo, s5
.LBB3_137:                              ;   in Loop: Header=BB3_3 Depth=1
	v_readfirstlane_b32 s0, v41
	v_mov_b64_e32 v[6:7], 0
	s_delay_alu instid0(VALU_DEP_2)
	v_cmp_eq_u32_e64 s0, s0, v41
	s_and_saveexec_b32 s1, s0
	s_cbranch_execz .LBB3_143
; %bb.138:                              ;   in Loop: Header=BB3_3 Depth=1
	global_load_b64 v[20:21], v1, s[14:15] offset:24 scope:SCOPE_SYS
	s_wait_loadcnt 0x0
	global_inv scope:SCOPE_SYS
	s_clause 0x1
	global_load_b64 v[6:7], v1, s[14:15] offset:40
	global_load_b64 v[10:11], v1, s[14:15]
	s_mov_b32 s5, exec_lo
	s_wait_loadcnt 0x1
	v_and_b32_e32 v6, v6, v20
	v_and_b32_e32 v7, v7, v21
	s_delay_alu instid0(VALU_DEP_1) | instskip(SKIP_1) | instid1(VALU_DEP_1)
	v_mul_u64_e32 v[6:7], 24, v[6:7]
	s_wait_loadcnt 0x0
	v_add_nc_u64_e32 v[6:7], v[10:11], v[6:7]
	global_load_b64 v[18:19], v[6:7], off scope:SCOPE_SYS
	s_wait_xcnt 0x0
	s_wait_loadcnt 0x0
	global_atomic_cmpswap_b64 v[6:7], v1, v[18:21], s[14:15] offset:24 th:TH_ATOMIC_RETURN scope:SCOPE_SYS
	s_wait_loadcnt 0x0
	global_inv scope:SCOPE_SYS
	s_wait_xcnt 0x0
	v_cmpx_ne_u64_e64 v[6:7], v[20:21]
	s_cbranch_execz .LBB3_142
; %bb.139:                              ;   in Loop: Header=BB3_3 Depth=1
	s_mov_b32 s6, 0
.LBB3_140:                              ;   Parent Loop BB3_3 Depth=1
                                        ; =>  This Inner Loop Header: Depth=2
	s_sleep 1
	s_clause 0x1
	global_load_b64 v[10:11], v1, s[14:15] offset:40
	global_load_b64 v[14:15], v1, s[14:15]
	v_mov_b64_e32 v[20:21], v[6:7]
	s_wait_loadcnt 0x1
	s_delay_alu instid0(VALU_DEP_1) | instskip(SKIP_1) | instid1(VALU_DEP_1)
	v_and_b32_e32 v0, v10, v20
	s_wait_loadcnt 0x0
	v_mad_nc_u64_u32 v[6:7], v0, 24, v[14:15]
	s_delay_alu instid0(VALU_DEP_3) | instskip(NEXT) | instid1(VALU_DEP_1)
	v_and_b32_e32 v0, v11, v21
	v_mad_u32 v7, v0, 24, v7
	global_load_b64 v[18:19], v[6:7], off scope:SCOPE_SYS
	s_wait_xcnt 0x0
	s_wait_loadcnt 0x0
	global_atomic_cmpswap_b64 v[6:7], v1, v[18:21], s[14:15] offset:24 th:TH_ATOMIC_RETURN scope:SCOPE_SYS
	s_wait_loadcnt 0x0
	global_inv scope:SCOPE_SYS
	v_cmp_eq_u64_e32 vcc_lo, v[6:7], v[20:21]
	s_or_b32 s6, vcc_lo, s6
	s_wait_xcnt 0x0
	s_and_not1_b32 exec_lo, exec_lo, s6
	s_cbranch_execnz .LBB3_140
; %bb.141:                              ;   in Loop: Header=BB3_3 Depth=1
	s_or_b32 exec_lo, exec_lo, s6
.LBB3_142:                              ;   in Loop: Header=BB3_3 Depth=1
	s_delay_alu instid0(SALU_CYCLE_1)
	s_or_b32 exec_lo, exec_lo, s5
.LBB3_143:                              ;   in Loop: Header=BB3_3 Depth=1
	s_delay_alu instid0(SALU_CYCLE_1)
	s_or_b32 exec_lo, exec_lo, s1
	s_clause 0x1
	global_load_b64 v[10:11], v1, s[14:15] offset:40
	global_load_b128 v[20:23], v1, s[14:15]
	v_readfirstlane_b32 s16, v6
	v_readfirstlane_b32 s17, v7
	s_mov_b32 s1, exec_lo
	s_wait_loadcnt 0x1
	v_and_b32_e32 v10, s16, v10
	v_and_b32_e32 v11, s17, v11
	s_delay_alu instid0(VALU_DEP_1) | instskip(SKIP_1) | instid1(VALU_DEP_1)
	v_mul_u64_e32 v[6:7], 24, v[10:11]
	s_wait_loadcnt 0x0
	v_add_nc_u64_e32 v[6:7], v[20:21], v[6:7]
	s_wait_xcnt 0x0
	s_and_saveexec_b32 s5, s0
	s_cbranch_execz .LBB3_145
; %bb.144:                              ;   in Loop: Header=BB3_3 Depth=1
	v_mov_b32_e32 v0, s1
	global_store_b128 v[6:7], v[0:3], off offset:8
.LBB3_145:                              ;   in Loop: Header=BB3_3 Depth=1
	s_wait_xcnt 0x0
	s_or_b32 exec_lo, exec_lo, s5
	v_lshlrev_b64_e32 v[10:11], 12, v[10:11]
	s_mov_b32 s6, s4
	s_mov_b32 s7, s4
	;; [unrolled: 1-line block ×3, first 2 shown]
	v_and_or_b32 v16, 0xffffff1f, v16, 32
	v_dual_mov_b32 v18, v40 :: v_dual_mov_b32 v19, v1
	s_delay_alu instid0(VALU_DEP_3) | instskip(SKIP_2) | instid1(VALU_DEP_3)
	v_add_nc_u64_e32 v[10:11], v[22:23], v[10:11]
	v_mov_b64_e32 v[24:25], s[6:7]
	v_mov_b64_e32 v[22:23], s[4:5]
	v_readfirstlane_b32 s18, v10
	s_delay_alu instid0(VALU_DEP_4)
	v_readfirstlane_b32 s19, v11
	s_clause 0x3
	global_store_b128 v36, v[16:19], s[18:19]
	global_store_b128 v36, v[22:25], s[18:19] offset:16
	global_store_b128 v36, v[22:25], s[18:19] offset:32
	;; [unrolled: 1-line block ×3, first 2 shown]
	s_wait_xcnt 0x0
	s_and_saveexec_b32 s1, s0
	s_cbranch_execz .LBB3_153
; %bb.146:                              ;   in Loop: Header=BB3_3 Depth=1
	s_clause 0x1
	global_load_b64 v[22:23], v1, s[14:15] offset:32 scope:SCOPE_SYS
	global_load_b64 v[14:15], v1, s[14:15] offset:40
	s_mov_b32 s5, exec_lo
	s_wait_loadcnt 0x0
	v_and_b32_e32 v14, s16, v14
	v_and_b32_e32 v15, s17, v15
	s_delay_alu instid0(VALU_DEP_1) | instskip(NEXT) | instid1(VALU_DEP_1)
	v_mul_u64_e32 v[14:15], 24, v[14:15]
	v_add_nc_u64_e32 v[18:19], v[20:21], v[14:15]
	v_dual_mov_b32 v20, s16 :: v_dual_mov_b32 v21, s17
	global_store_b64 v[18:19], v[22:23], off
	global_wb scope:SCOPE_SYS
	s_wait_storecnt 0x0
	s_wait_xcnt 0x0
	global_atomic_cmpswap_b64 v[16:17], v1, v[20:23], s[14:15] offset:32 th:TH_ATOMIC_RETURN scope:SCOPE_SYS
	s_wait_loadcnt 0x0
	v_cmpx_ne_u64_e64 v[16:17], v[22:23]
	s_cbranch_execz .LBB3_149
; %bb.147:                              ;   in Loop: Header=BB3_3 Depth=1
	s_mov_b32 s6, 0
.LBB3_148:                              ;   Parent Loop BB3_3 Depth=1
                                        ; =>  This Inner Loop Header: Depth=2
	v_dual_mov_b32 v14, s16 :: v_dual_mov_b32 v15, s17
	s_sleep 1
	global_store_b64 v[18:19], v[16:17], off
	global_wb scope:SCOPE_SYS
	s_wait_storecnt 0x0
	s_wait_xcnt 0x0
	global_atomic_cmpswap_b64 v[14:15], v1, v[14:17], s[14:15] offset:32 th:TH_ATOMIC_RETURN scope:SCOPE_SYS
	s_wait_loadcnt 0x0
	v_cmp_eq_u64_e32 vcc_lo, v[14:15], v[16:17]
	v_mov_b64_e32 v[16:17], v[14:15]
	s_or_b32 s6, vcc_lo, s6
	s_delay_alu instid0(SALU_CYCLE_1)
	s_and_not1_b32 exec_lo, exec_lo, s6
	s_cbranch_execnz .LBB3_148
.LBB3_149:                              ;   in Loop: Header=BB3_3 Depth=1
	s_or_b32 exec_lo, exec_lo, s5
	global_load_b64 v[14:15], v1, s[14:15] offset:16
	s_mov_b32 s6, exec_lo
	s_mov_b32 s5, exec_lo
	v_mbcnt_lo_u32_b32 v0, s6, 0
	s_wait_xcnt 0x0
	s_delay_alu instid0(VALU_DEP_1)
	v_cmpx_eq_u32_e32 0, v0
	s_cbranch_execz .LBB3_151
; %bb.150:                              ;   in Loop: Header=BB3_3 Depth=1
	s_bcnt1_i32_b32 s6, s6
	s_delay_alu instid0(SALU_CYCLE_1)
	v_mov_b32_e32 v0, s6
	global_wb scope:SCOPE_SYS
	s_wait_loadcnt 0x0
	s_wait_storecnt 0x0
	global_atomic_add_u64 v[14:15], v[0:1], off offset:8 scope:SCOPE_SYS
.LBB3_151:                              ;   in Loop: Header=BB3_3 Depth=1
	s_wait_xcnt 0x0
	s_or_b32 exec_lo, exec_lo, s5
	s_wait_loadcnt 0x0
	global_load_b64 v[16:17], v[14:15], off offset:16
	s_wait_loadcnt 0x0
	v_cmp_eq_u64_e32 vcc_lo, 0, v[16:17]
	s_cbranch_vccnz .LBB3_153
; %bb.152:                              ;   in Loop: Header=BB3_3 Depth=1
	global_load_b32 v0, v[14:15], off offset:24
	s_wait_loadcnt 0x0
	v_readfirstlane_b32 s5, v0
	global_wb scope:SCOPE_SYS
	s_wait_storecnt 0x0
	s_wait_xcnt 0x0
	global_store_b64 v[16:17], v[0:1], off scope:SCOPE_SYS
	s_and_b32 m0, s5, 0xffffff
	s_sendmsg sendmsg(MSG_INTERRUPT)
.LBB3_153:                              ;   in Loop: Header=BB3_3 Depth=1
	s_wait_xcnt 0x0
	s_or_b32 exec_lo, exec_lo, s1
	v_mov_b32_e32 v37, v1
	s_delay_alu instid0(VALU_DEP_1)
	v_add_nc_u64_e32 v[10:11], v[10:11], v[36:37]
	s_branch .LBB3_157
.LBB3_154:                              ;   in Loop: Header=BB3_157 Depth=2
	s_wait_xcnt 0x0
	s_or_b32 exec_lo, exec_lo, s1
	s_delay_alu instid0(VALU_DEP_1)
	v_readfirstlane_b32 s1, v0
	s_cmp_eq_u32 s1, 0
	s_cbranch_scc1 .LBB3_156
; %bb.155:                              ;   in Loop: Header=BB3_157 Depth=2
	s_sleep 1
	s_cbranch_execnz .LBB3_157
	s_branch .LBB3_159
.LBB3_156:                              ;   in Loop: Header=BB3_3 Depth=1
	s_branch .LBB3_159
.LBB3_157:                              ;   Parent Loop BB3_3 Depth=1
                                        ; =>  This Inner Loop Header: Depth=2
	v_mov_b32_e32 v0, 1
	s_and_saveexec_b32 s1, s0
	s_cbranch_execz .LBB3_154
; %bb.158:                              ;   in Loop: Header=BB3_157 Depth=2
	global_load_b32 v0, v[6:7], off offset:20 scope:SCOPE_SYS
	s_wait_loadcnt 0x0
	global_inv scope:SCOPE_SYS
	v_and_b32_e32 v0, 1, v0
	s_branch .LBB3_154
.LBB3_159:                              ;   in Loop: Header=BB3_3 Depth=1
	global_load_b64 v[10:11], v[10:11], off
	s_wait_xcnt 0x0
	s_and_saveexec_b32 s5, s0
	s_cbranch_execz .LBB3_163
; %bb.160:                              ;   in Loop: Header=BB3_3 Depth=1
	s_clause 0x2
	global_load_b64 v[6:7], v1, s[14:15] offset:40
	global_load_b64 v[18:19], v1, s[14:15] offset:24 scope:SCOPE_SYS
	global_load_b64 v[14:15], v1, s[14:15]
	s_wait_loadcnt 0x2
	v_readfirstlane_b32 s6, v6
	v_readfirstlane_b32 s7, v7
	s_add_nc_u64 s[0:1], s[6:7], 1
	s_delay_alu instid0(SALU_CYCLE_1) | instskip(NEXT) | instid1(SALU_CYCLE_1)
	s_add_nc_u64 s[16:17], s[0:1], s[16:17]
	s_cmp_eq_u64 s[16:17], 0
	s_cselect_b32 s1, s1, s17
	s_cselect_b32 s0, s0, s16
	s_delay_alu instid0(SALU_CYCLE_1) | instskip(SKIP_1) | instid1(SALU_CYCLE_1)
	v_dual_mov_b32 v17, s1 :: v_dual_mov_b32 v16, s0
	s_and_b64 s[6:7], s[0:1], s[6:7]
	s_mul_u64 s[6:7], s[6:7], 24
	s_wait_loadcnt 0x0
	v_add_nc_u64_e32 v[6:7], s[6:7], v[14:15]
	global_store_b64 v[6:7], v[18:19], off
	global_wb scope:SCOPE_SYS
	s_wait_storecnt 0x0
	s_wait_xcnt 0x0
	global_atomic_cmpswap_b64 v[16:17], v1, v[16:19], s[14:15] offset:24 th:TH_ATOMIC_RETURN scope:SCOPE_SYS
	s_wait_loadcnt 0x0
	v_cmp_ne_u64_e32 vcc_lo, v[16:17], v[18:19]
	s_and_b32 exec_lo, exec_lo, vcc_lo
	s_cbranch_execz .LBB3_163
; %bb.161:                              ;   in Loop: Header=BB3_3 Depth=1
	s_mov_b32 s6, 0
.LBB3_162:                              ;   Parent Loop BB3_3 Depth=1
                                        ; =>  This Inner Loop Header: Depth=2
	v_dual_mov_b32 v14, s0 :: v_dual_mov_b32 v15, s1
	s_sleep 1
	global_store_b64 v[6:7], v[16:17], off
	global_wb scope:SCOPE_SYS
	s_wait_storecnt 0x0
	s_wait_xcnt 0x0
	global_atomic_cmpswap_b64 v[14:15], v1, v[14:17], s[14:15] offset:24 th:TH_ATOMIC_RETURN scope:SCOPE_SYS
	s_wait_loadcnt 0x0
	v_cmp_eq_u64_e32 vcc_lo, v[14:15], v[16:17]
	v_mov_b64_e32 v[16:17], v[14:15]
	s_or_b32 s6, vcc_lo, s6
	s_delay_alu instid0(SALU_CYCLE_1)
	s_and_not1_b32 exec_lo, exec_lo, s6
	s_cbranch_execnz .LBB3_162
.LBB3_163:                              ;   in Loop: Header=BB3_3 Depth=1
	s_or_b32 exec_lo, exec_lo, s5
	v_readfirstlane_b32 s0, v41
	v_mov_b64_e32 v[6:7], 0
	s_delay_alu instid0(VALU_DEP_2)
	v_cmp_eq_u32_e64 s0, s0, v41
	s_and_saveexec_b32 s1, s0
	s_cbranch_execz .LBB3_169
; %bb.164:                              ;   in Loop: Header=BB3_3 Depth=1
	global_load_b64 v[16:17], v1, s[14:15] offset:24 scope:SCOPE_SYS
	s_wait_loadcnt 0x0
	global_inv scope:SCOPE_SYS
	s_clause 0x1
	global_load_b64 v[6:7], v1, s[14:15] offset:40
	global_load_b64 v[14:15], v1, s[14:15]
	s_mov_b32 s5, exec_lo
	s_wait_loadcnt 0x1
	v_and_b32_e32 v6, v6, v16
	v_and_b32_e32 v7, v7, v17
	s_delay_alu instid0(VALU_DEP_1) | instskip(SKIP_1) | instid1(VALU_DEP_1)
	v_mul_u64_e32 v[6:7], 24, v[6:7]
	s_wait_loadcnt 0x0
	v_add_nc_u64_e32 v[6:7], v[14:15], v[6:7]
	global_load_b64 v[14:15], v[6:7], off scope:SCOPE_SYS
	s_wait_xcnt 0x0
	s_wait_loadcnt 0x0
	global_atomic_cmpswap_b64 v[6:7], v1, v[14:17], s[14:15] offset:24 th:TH_ATOMIC_RETURN scope:SCOPE_SYS
	s_wait_loadcnt 0x0
	global_inv scope:SCOPE_SYS
	s_wait_xcnt 0x0
	v_cmpx_ne_u64_e64 v[6:7], v[16:17]
	s_cbranch_execz .LBB3_168
; %bb.165:                              ;   in Loop: Header=BB3_3 Depth=1
	s_mov_b32 s6, 0
.LBB3_166:                              ;   Parent Loop BB3_3 Depth=1
                                        ; =>  This Inner Loop Header: Depth=2
	s_sleep 1
	s_clause 0x1
	global_load_b64 v[14:15], v1, s[14:15] offset:40
	global_load_b64 v[18:19], v1, s[14:15]
	v_mov_b64_e32 v[16:17], v[6:7]
	s_wait_loadcnt 0x1
	s_delay_alu instid0(VALU_DEP_1) | instskip(SKIP_1) | instid1(VALU_DEP_1)
	v_and_b32_e32 v0, v14, v16
	s_wait_loadcnt 0x0
	v_mad_nc_u64_u32 v[6:7], v0, 24, v[18:19]
	s_delay_alu instid0(VALU_DEP_3) | instskip(NEXT) | instid1(VALU_DEP_1)
	v_and_b32_e32 v0, v15, v17
	v_mad_u32 v7, v0, 24, v7
	global_load_b64 v[14:15], v[6:7], off scope:SCOPE_SYS
	s_wait_xcnt 0x0
	s_wait_loadcnt 0x0
	global_atomic_cmpswap_b64 v[6:7], v1, v[14:17], s[14:15] offset:24 th:TH_ATOMIC_RETURN scope:SCOPE_SYS
	s_wait_loadcnt 0x0
	global_inv scope:SCOPE_SYS
	v_cmp_eq_u64_e32 vcc_lo, v[6:7], v[16:17]
	s_or_b32 s6, vcc_lo, s6
	s_wait_xcnt 0x0
	s_and_not1_b32 exec_lo, exec_lo, s6
	s_cbranch_execnz .LBB3_166
; %bb.167:                              ;   in Loop: Header=BB3_3 Depth=1
	s_or_b32 exec_lo, exec_lo, s6
.LBB3_168:                              ;   in Loop: Header=BB3_3 Depth=1
	s_delay_alu instid0(SALU_CYCLE_1)
	s_or_b32 exec_lo, exec_lo, s5
.LBB3_169:                              ;   in Loop: Header=BB3_3 Depth=1
	s_delay_alu instid0(SALU_CYCLE_1)
	s_or_b32 exec_lo, exec_lo, s1
	s_clause 0x1
	global_load_b64 v[18:19], v1, s[14:15] offset:40
	global_load_b128 v[14:17], v1, s[14:15]
	v_readfirstlane_b32 s16, v6
	v_readfirstlane_b32 s17, v7
	s_mov_b32 s1, exec_lo
	s_wait_loadcnt 0x1
	v_and_b32_e32 v18, s16, v18
	v_and_b32_e32 v19, s17, v19
	s_delay_alu instid0(VALU_DEP_1) | instskip(SKIP_1) | instid1(VALU_DEP_1)
	v_mul_u64_e32 v[6:7], 24, v[18:19]
	s_wait_loadcnt 0x0
	v_add_nc_u64_e32 v[6:7], v[14:15], v[6:7]
	s_wait_xcnt 0x0
	s_and_saveexec_b32 s5, s0
	s_cbranch_execz .LBB3_171
; %bb.170:                              ;   in Loop: Header=BB3_3 Depth=1
	v_mov_b32_e32 v0, s1
	global_store_b128 v[6:7], v[0:3], off offset:8
.LBB3_171:                              ;   in Loop: Header=BB3_3 Depth=1
	s_wait_xcnt 0x0
	s_or_b32 exec_lo, exec_lo, s5
	v_lshlrev_b64_e32 v[18:19], 12, v[18:19]
	s_mov_b32 s6, s4
	s_mov_b32 s7, s4
	;; [unrolled: 1-line block ×3, first 2 shown]
	v_and_or_b32 v10, 0xffffff1f, v10, 32
	s_delay_alu instid0(VALU_DEP_2) | instskip(SKIP_2) | instid1(VALU_DEP_3)
	v_add_nc_u64_e32 v[16:17], v[16:17], v[18:19]
	v_mov_b64_e32 v[20:21], s[6:7]
	v_mov_b64_e32 v[18:19], s[4:5]
	v_readfirstlane_b32 s18, v16
	s_delay_alu instid0(VALU_DEP_4)
	v_readfirstlane_b32 s19, v17
	s_clause 0x3
	global_store_b128 v36, v[10:13], s[18:19]
	global_store_b128 v36, v[18:21], s[18:19] offset:16
	global_store_b128 v36, v[18:21], s[18:19] offset:32
	;; [unrolled: 1-line block ×3, first 2 shown]
	s_wait_xcnt 0x0
	s_and_saveexec_b32 s1, s0
	s_cbranch_execz .LBB3_179
; %bb.172:                              ;   in Loop: Header=BB3_3 Depth=1
	s_clause 0x1
	global_load_b64 v[20:21], v1, s[14:15] offset:32 scope:SCOPE_SYS
	global_load_b64 v[10:11], v1, s[14:15] offset:40
	s_mov_b32 s5, exec_lo
	v_dual_mov_b32 v18, s16 :: v_dual_mov_b32 v19, s17
	s_wait_loadcnt 0x0
	v_and_b32_e32 v11, s17, v11
	v_and_b32_e32 v10, s16, v10
	s_delay_alu instid0(VALU_DEP_1) | instskip(NEXT) | instid1(VALU_DEP_1)
	v_mul_u64_e32 v[10:11], 24, v[10:11]
	v_add_nc_u64_e32 v[14:15], v[14:15], v[10:11]
	global_store_b64 v[14:15], v[20:21], off
	global_wb scope:SCOPE_SYS
	s_wait_storecnt 0x0
	s_wait_xcnt 0x0
	global_atomic_cmpswap_b64 v[12:13], v1, v[18:21], s[14:15] offset:32 th:TH_ATOMIC_RETURN scope:SCOPE_SYS
	s_wait_loadcnt 0x0
	v_cmpx_ne_u64_e64 v[12:13], v[20:21]
	s_cbranch_execz .LBB3_175
; %bb.173:                              ;   in Loop: Header=BB3_3 Depth=1
	s_mov_b32 s6, 0
.LBB3_174:                              ;   Parent Loop BB3_3 Depth=1
                                        ; =>  This Inner Loop Header: Depth=2
	v_dual_mov_b32 v10, s16 :: v_dual_mov_b32 v11, s17
	s_sleep 1
	global_store_b64 v[14:15], v[12:13], off
	global_wb scope:SCOPE_SYS
	s_wait_storecnt 0x0
	s_wait_xcnt 0x0
	global_atomic_cmpswap_b64 v[10:11], v1, v[10:13], s[14:15] offset:32 th:TH_ATOMIC_RETURN scope:SCOPE_SYS
	s_wait_loadcnt 0x0
	v_cmp_eq_u64_e32 vcc_lo, v[10:11], v[12:13]
	v_mov_b64_e32 v[12:13], v[10:11]
	s_or_b32 s6, vcc_lo, s6
	s_delay_alu instid0(SALU_CYCLE_1)
	s_and_not1_b32 exec_lo, exec_lo, s6
	s_cbranch_execnz .LBB3_174
.LBB3_175:                              ;   in Loop: Header=BB3_3 Depth=1
	s_or_b32 exec_lo, exec_lo, s5
	global_load_b64 v[10:11], v1, s[14:15] offset:16
	s_mov_b32 s6, exec_lo
	s_mov_b32 s5, exec_lo
	v_mbcnt_lo_u32_b32 v0, s6, 0
	s_wait_xcnt 0x0
	s_delay_alu instid0(VALU_DEP_1)
	v_cmpx_eq_u32_e32 0, v0
	s_cbranch_execz .LBB3_177
; %bb.176:                              ;   in Loop: Header=BB3_3 Depth=1
	s_bcnt1_i32_b32 s6, s6
	s_delay_alu instid0(SALU_CYCLE_1)
	v_mov_b32_e32 v0, s6
	global_wb scope:SCOPE_SYS
	s_wait_loadcnt 0x0
	s_wait_storecnt 0x0
	global_atomic_add_u64 v[10:11], v[0:1], off offset:8 scope:SCOPE_SYS
.LBB3_177:                              ;   in Loop: Header=BB3_3 Depth=1
	s_wait_xcnt 0x0
	s_or_b32 exec_lo, exec_lo, s5
	s_wait_loadcnt 0x0
	global_load_b64 v[12:13], v[10:11], off offset:16
	s_wait_loadcnt 0x0
	v_cmp_eq_u64_e32 vcc_lo, 0, v[12:13]
	s_cbranch_vccnz .LBB3_179
; %bb.178:                              ;   in Loop: Header=BB3_3 Depth=1
	global_load_b32 v0, v[10:11], off offset:24
	s_wait_loadcnt 0x0
	v_readfirstlane_b32 s5, v0
	global_wb scope:SCOPE_SYS
	s_wait_storecnt 0x0
	s_wait_xcnt 0x0
	global_store_b64 v[12:13], v[0:1], off scope:SCOPE_SYS
	s_and_b32 m0, s5, 0xffffff
	s_sendmsg sendmsg(MSG_INTERRUPT)
.LBB3_179:                              ;   in Loop: Header=BB3_3 Depth=1
	s_wait_xcnt 0x0
	s_or_b32 exec_lo, exec_lo, s1
	v_mov_b32_e32 v37, v1
	s_delay_alu instid0(VALU_DEP_1)
	v_add_nc_u64_e32 v[10:11], v[16:17], v[36:37]
	s_branch .LBB3_183
.LBB3_180:                              ;   in Loop: Header=BB3_183 Depth=2
	s_wait_xcnt 0x0
	s_or_b32 exec_lo, exec_lo, s1
	s_delay_alu instid0(VALU_DEP_1)
	v_readfirstlane_b32 s1, v0
	s_cmp_eq_u32 s1, 0
	s_cbranch_scc1 .LBB3_182
; %bb.181:                              ;   in Loop: Header=BB3_183 Depth=2
	s_sleep 1
	s_cbranch_execnz .LBB3_183
	s_branch .LBB3_185
.LBB3_182:                              ;   in Loop: Header=BB3_3 Depth=1
	s_branch .LBB3_185
.LBB3_183:                              ;   Parent Loop BB3_3 Depth=1
                                        ; =>  This Inner Loop Header: Depth=2
	v_mov_b32_e32 v0, 1
	s_and_saveexec_b32 s1, s0
	s_cbranch_execz .LBB3_180
; %bb.184:                              ;   in Loop: Header=BB3_183 Depth=2
	global_load_b32 v0, v[6:7], off offset:20 scope:SCOPE_SYS
	s_wait_loadcnt 0x0
	global_inv scope:SCOPE_SYS
	v_and_b32_e32 v0, 1, v0
	s_branch .LBB3_180
.LBB3_185:                              ;   in Loop: Header=BB3_3 Depth=1
	global_load_b64 v[6:7], v[10:11], off
	s_wait_xcnt 0x0
	s_and_saveexec_b32 s5, s0
	s_cbranch_execz .LBB3_189
; %bb.186:                              ;   in Loop: Header=BB3_3 Depth=1
	s_clause 0x2
	global_load_b64 v[10:11], v1, s[14:15] offset:40
	global_load_b64 v[18:19], v1, s[14:15] offset:24 scope:SCOPE_SYS
	global_load_b64 v[12:13], v1, s[14:15]
	s_wait_loadcnt 0x2
	v_readfirstlane_b32 s6, v10
	v_readfirstlane_b32 s7, v11
	s_add_nc_u64 s[0:1], s[6:7], 1
	s_delay_alu instid0(SALU_CYCLE_1) | instskip(NEXT) | instid1(SALU_CYCLE_1)
	s_add_nc_u64 s[16:17], s[0:1], s[16:17]
	s_cmp_eq_u64 s[16:17], 0
	s_cselect_b32 s1, s1, s17
	s_cselect_b32 s0, s0, s16
	s_delay_alu instid0(SALU_CYCLE_1) | instskip(SKIP_1) | instid1(SALU_CYCLE_1)
	v_dual_mov_b32 v17, s1 :: v_dual_mov_b32 v16, s0
	s_and_b64 s[6:7], s[0:1], s[6:7]
	s_mul_u64 s[6:7], s[6:7], 24
	s_wait_loadcnt 0x0
	v_add_nc_u64_e32 v[14:15], s[6:7], v[12:13]
	global_store_b64 v[14:15], v[18:19], off
	global_wb scope:SCOPE_SYS
	s_wait_storecnt 0x0
	s_wait_xcnt 0x0
	global_atomic_cmpswap_b64 v[12:13], v1, v[16:19], s[14:15] offset:24 th:TH_ATOMIC_RETURN scope:SCOPE_SYS
	s_wait_loadcnt 0x0
	v_cmp_ne_u64_e32 vcc_lo, v[12:13], v[18:19]
	s_and_b32 exec_lo, exec_lo, vcc_lo
	s_cbranch_execz .LBB3_189
; %bb.187:                              ;   in Loop: Header=BB3_3 Depth=1
	s_mov_b32 s6, 0
.LBB3_188:                              ;   Parent Loop BB3_3 Depth=1
                                        ; =>  This Inner Loop Header: Depth=2
	v_dual_mov_b32 v10, s0 :: v_dual_mov_b32 v11, s1
	s_sleep 1
	global_store_b64 v[14:15], v[12:13], off
	global_wb scope:SCOPE_SYS
	s_wait_storecnt 0x0
	s_wait_xcnt 0x0
	global_atomic_cmpswap_b64 v[10:11], v1, v[10:13], s[14:15] offset:24 th:TH_ATOMIC_RETURN scope:SCOPE_SYS
	s_wait_loadcnt 0x0
	v_cmp_eq_u64_e32 vcc_lo, v[10:11], v[12:13]
	v_mov_b64_e32 v[12:13], v[10:11]
	s_or_b32 s6, vcc_lo, s6
	s_delay_alu instid0(SALU_CYCLE_1)
	s_and_not1_b32 exec_lo, exec_lo, s6
	s_cbranch_execnz .LBB3_188
.LBB3_189:                              ;   in Loop: Header=BB3_3 Depth=1
	s_or_b32 exec_lo, exec_lo, s5
	v_readfirstlane_b32 s0, v41
	v_mov_b64_e32 v[14:15], 0
	s_delay_alu instid0(VALU_DEP_2)
	v_cmp_eq_u32_e64 s0, s0, v41
	s_and_saveexec_b32 s1, s0
	s_cbranch_execz .LBB3_195
; %bb.190:                              ;   in Loop: Header=BB3_3 Depth=1
	global_load_b64 v[12:13], v1, s[14:15] offset:24 scope:SCOPE_SYS
	s_wait_loadcnt 0x0
	global_inv scope:SCOPE_SYS
	s_clause 0x1
	global_load_b64 v[10:11], v1, s[14:15] offset:40
	global_load_b64 v[14:15], v1, s[14:15]
	s_mov_b32 s5, exec_lo
	s_wait_loadcnt 0x1
	v_and_b32_e32 v10, v10, v12
	v_and_b32_e32 v11, v11, v13
	s_delay_alu instid0(VALU_DEP_1) | instskip(SKIP_1) | instid1(VALU_DEP_1)
	v_mul_u64_e32 v[10:11], 24, v[10:11]
	s_wait_loadcnt 0x0
	v_add_nc_u64_e32 v[10:11], v[14:15], v[10:11]
	global_load_b64 v[10:11], v[10:11], off scope:SCOPE_SYS
	s_wait_xcnt 0x0
	s_wait_loadcnt 0x0
	global_atomic_cmpswap_b64 v[14:15], v1, v[10:13], s[14:15] offset:24 th:TH_ATOMIC_RETURN scope:SCOPE_SYS
	s_wait_loadcnt 0x0
	global_inv scope:SCOPE_SYS
	s_wait_xcnt 0x0
	v_cmpx_ne_u64_e64 v[14:15], v[12:13]
	s_cbranch_execz .LBB3_194
; %bb.191:                              ;   in Loop: Header=BB3_3 Depth=1
	s_mov_b32 s6, 0
.LBB3_192:                              ;   Parent Loop BB3_3 Depth=1
                                        ; =>  This Inner Loop Header: Depth=2
	s_sleep 1
	s_clause 0x1
	global_load_b64 v[10:11], v1, s[14:15] offset:40
	global_load_b64 v[16:17], v1, s[14:15]
	v_mov_b64_e32 v[12:13], v[14:15]
	s_wait_loadcnt 0x1
	s_delay_alu instid0(VALU_DEP_1) | instskip(SKIP_1) | instid1(VALU_DEP_1)
	v_and_b32_e32 v0, v10, v12
	s_wait_loadcnt 0x0
	v_mad_nc_u64_u32 v[14:15], v0, 24, v[16:17]
	s_delay_alu instid0(VALU_DEP_3) | instskip(NEXT) | instid1(VALU_DEP_1)
	v_and_b32_e32 v0, v11, v13
	v_mad_u32 v15, v0, 24, v15
	global_load_b64 v[10:11], v[14:15], off scope:SCOPE_SYS
	s_wait_xcnt 0x0
	s_wait_loadcnt 0x0
	global_atomic_cmpswap_b64 v[14:15], v1, v[10:13], s[14:15] offset:24 th:TH_ATOMIC_RETURN scope:SCOPE_SYS
	s_wait_loadcnt 0x0
	global_inv scope:SCOPE_SYS
	v_cmp_eq_u64_e32 vcc_lo, v[14:15], v[12:13]
	s_or_b32 s6, vcc_lo, s6
	s_wait_xcnt 0x0
	s_and_not1_b32 exec_lo, exec_lo, s6
	s_cbranch_execnz .LBB3_192
; %bb.193:                              ;   in Loop: Header=BB3_3 Depth=1
	s_or_b32 exec_lo, exec_lo, s6
.LBB3_194:                              ;   in Loop: Header=BB3_3 Depth=1
	s_delay_alu instid0(SALU_CYCLE_1)
	s_or_b32 exec_lo, exec_lo, s5
.LBB3_195:                              ;   in Loop: Header=BB3_3 Depth=1
	s_delay_alu instid0(SALU_CYCLE_1)
	s_or_b32 exec_lo, exec_lo, s1
	s_clause 0x1
	global_load_b64 v[16:17], v1, s[14:15] offset:40
	global_load_b128 v[10:13], v1, s[14:15]
	v_readfirstlane_b32 s16, v14
	v_readfirstlane_b32 s17, v15
	s_mov_b32 s1, exec_lo
	s_wait_loadcnt 0x1
	v_and_b32_e32 v16, s16, v16
	v_and_b32_e32 v17, s17, v17
	s_delay_alu instid0(VALU_DEP_1) | instskip(SKIP_1) | instid1(VALU_DEP_1)
	v_mul_u64_e32 v[14:15], 24, v[16:17]
	s_wait_loadcnt 0x0
	v_add_nc_u64_e32 v[14:15], v[10:11], v[14:15]
	s_wait_xcnt 0x0
	s_and_saveexec_b32 s5, s0
	s_cbranch_execz .LBB3_197
; %bb.196:                              ;   in Loop: Header=BB3_3 Depth=1
	v_mov_b32_e32 v0, s1
	global_store_b128 v[14:15], v[0:3], off offset:8
.LBB3_197:                              ;   in Loop: Header=BB3_3 Depth=1
	s_wait_xcnt 0x0
	s_or_b32 exec_lo, exec_lo, s5
	v_lshlrev_b64_e32 v[16:17], 12, v[16:17]
	s_mov_b32 s6, s4
	s_mov_b32 s7, s4
	;; [unrolled: 1-line block ×3, first 2 shown]
	v_and_or_b32 v6, 0xffffff1d, v6, 34
	s_delay_alu instid0(VALU_DEP_2) | instskip(SKIP_2) | instid1(VALU_DEP_3)
	v_add_nc_u64_e32 v[12:13], v[12:13], v[16:17]
	v_mov_b64_e32 v[18:19], s[6:7]
	v_mov_b64_e32 v[16:17], s[4:5]
	v_readfirstlane_b32 s18, v12
	s_delay_alu instid0(VALU_DEP_4)
	v_readfirstlane_b32 s19, v13
	s_clause 0x3
	global_store_b128 v36, v[6:9], s[18:19]
	global_store_b128 v36, v[16:19], s[18:19] offset:16
	global_store_b128 v36, v[16:19], s[18:19] offset:32
	;; [unrolled: 1-line block ×3, first 2 shown]
	s_wait_xcnt 0x0
	s_and_saveexec_b32 s1, s0
	s_cbranch_execz .LBB3_205
; %bb.198:                              ;   in Loop: Header=BB3_3 Depth=1
	s_clause 0x1
	global_load_b64 v[18:19], v1, s[14:15] offset:32 scope:SCOPE_SYS
	global_load_b64 v[6:7], v1, s[14:15] offset:40
	s_mov_b32 s5, exec_lo
	v_dual_mov_b32 v16, s16 :: v_dual_mov_b32 v17, s17
	s_wait_loadcnt 0x0
	v_and_b32_e32 v7, s17, v7
	v_and_b32_e32 v6, s16, v6
	s_delay_alu instid0(VALU_DEP_1) | instskip(NEXT) | instid1(VALU_DEP_1)
	v_mul_u64_e32 v[6:7], 24, v[6:7]
	v_add_nc_u64_e32 v[10:11], v[10:11], v[6:7]
	global_store_b64 v[10:11], v[18:19], off
	global_wb scope:SCOPE_SYS
	s_wait_storecnt 0x0
	s_wait_xcnt 0x0
	global_atomic_cmpswap_b64 v[8:9], v1, v[16:19], s[14:15] offset:32 th:TH_ATOMIC_RETURN scope:SCOPE_SYS
	s_wait_loadcnt 0x0
	v_cmpx_ne_u64_e64 v[8:9], v[18:19]
	s_cbranch_execz .LBB3_201
; %bb.199:                              ;   in Loop: Header=BB3_3 Depth=1
	s_mov_b32 s6, 0
.LBB3_200:                              ;   Parent Loop BB3_3 Depth=1
                                        ; =>  This Inner Loop Header: Depth=2
	v_dual_mov_b32 v6, s16 :: v_dual_mov_b32 v7, s17
	s_sleep 1
	global_store_b64 v[10:11], v[8:9], off
	global_wb scope:SCOPE_SYS
	s_wait_storecnt 0x0
	s_wait_xcnt 0x0
	global_atomic_cmpswap_b64 v[6:7], v1, v[6:9], s[14:15] offset:32 th:TH_ATOMIC_RETURN scope:SCOPE_SYS
	s_wait_loadcnt 0x0
	v_cmp_eq_u64_e32 vcc_lo, v[6:7], v[8:9]
	v_mov_b64_e32 v[8:9], v[6:7]
	s_or_b32 s6, vcc_lo, s6
	s_delay_alu instid0(SALU_CYCLE_1)
	s_and_not1_b32 exec_lo, exec_lo, s6
	s_cbranch_execnz .LBB3_200
.LBB3_201:                              ;   in Loop: Header=BB3_3 Depth=1
	s_or_b32 exec_lo, exec_lo, s5
	global_load_b64 v[6:7], v1, s[14:15] offset:16
	s_mov_b32 s6, exec_lo
	s_mov_b32 s5, exec_lo
	v_mbcnt_lo_u32_b32 v0, s6, 0
	s_wait_xcnt 0x0
	s_delay_alu instid0(VALU_DEP_1)
	v_cmpx_eq_u32_e32 0, v0
	s_cbranch_execz .LBB3_203
; %bb.202:                              ;   in Loop: Header=BB3_3 Depth=1
	s_bcnt1_i32_b32 s6, s6
	s_delay_alu instid0(SALU_CYCLE_1)
	v_mov_b32_e32 v0, s6
	global_wb scope:SCOPE_SYS
	s_wait_loadcnt 0x0
	s_wait_storecnt 0x0
	global_atomic_add_u64 v[6:7], v[0:1], off offset:8 scope:SCOPE_SYS
.LBB3_203:                              ;   in Loop: Header=BB3_3 Depth=1
	s_wait_xcnt 0x0
	s_or_b32 exec_lo, exec_lo, s5
	s_wait_loadcnt 0x0
	global_load_b64 v[8:9], v[6:7], off offset:16
	s_wait_loadcnt 0x0
	v_cmp_eq_u64_e32 vcc_lo, 0, v[8:9]
	s_cbranch_vccnz .LBB3_205
; %bb.204:                              ;   in Loop: Header=BB3_3 Depth=1
	global_load_b32 v0, v[6:7], off offset:24
	s_wait_loadcnt 0x0
	v_readfirstlane_b32 s5, v0
	global_wb scope:SCOPE_SYS
	s_wait_storecnt 0x0
	s_wait_xcnt 0x0
	global_store_b64 v[8:9], v[0:1], off scope:SCOPE_SYS
	s_and_b32 m0, s5, 0xffffff
	s_sendmsg sendmsg(MSG_INTERRUPT)
.LBB3_205:                              ;   in Loop: Header=BB3_3 Depth=1
	s_wait_xcnt 0x0
	s_or_b32 exec_lo, exec_lo, s1
	s_branch .LBB3_209
.LBB3_206:                              ;   in Loop: Header=BB3_209 Depth=2
	s_wait_xcnt 0x0
	s_or_b32 exec_lo, exec_lo, s1
	s_delay_alu instid0(VALU_DEP_1)
	v_readfirstlane_b32 s1, v0
	s_cmp_eq_u32 s1, 0
	s_cbranch_scc1 .LBB3_208
; %bb.207:                              ;   in Loop: Header=BB3_209 Depth=2
	s_sleep 1
	s_cbranch_execnz .LBB3_209
	s_branch .LBB3_211
.LBB3_208:                              ;   in Loop: Header=BB3_3 Depth=1
	s_branch .LBB3_211
.LBB3_209:                              ;   Parent Loop BB3_3 Depth=1
                                        ; =>  This Inner Loop Header: Depth=2
	v_mov_b32_e32 v0, 1
	s_and_saveexec_b32 s1, s0
	s_cbranch_execz .LBB3_206
; %bb.210:                              ;   in Loop: Header=BB3_209 Depth=2
	global_load_b32 v0, v[14:15], off offset:20 scope:SCOPE_SYS
	s_wait_loadcnt 0x0
	global_inv scope:SCOPE_SYS
	v_and_b32_e32 v0, 1, v0
	s_branch .LBB3_206
.LBB3_211:                              ;   in Loop: Header=BB3_3 Depth=1
	s_and_b32 exec_lo, exec_lo, s0
	s_cbranch_execz .LBB3_2
; %bb.212:                              ;   in Loop: Header=BB3_3 Depth=1
	s_clause 0x2
	global_load_b64 v[6:7], v1, s[14:15] offset:40
	global_load_b64 v[14:15], v1, s[14:15] offset:24 scope:SCOPE_SYS
	global_load_b64 v[8:9], v1, s[14:15]
	s_wait_loadcnt 0x2
	v_readfirstlane_b32 s6, v6
	v_readfirstlane_b32 s7, v7
	s_add_nc_u64 s[0:1], s[6:7], 1
	s_delay_alu instid0(SALU_CYCLE_1) | instskip(NEXT) | instid1(SALU_CYCLE_1)
	s_add_nc_u64 s[16:17], s[0:1], s[16:17]
	s_cmp_eq_u64 s[16:17], 0
	s_cselect_b32 s1, s1, s17
	s_cselect_b32 s0, s0, s16
	s_delay_alu instid0(SALU_CYCLE_1) | instskip(SKIP_1) | instid1(SALU_CYCLE_1)
	v_dual_mov_b32 v13, s1 :: v_dual_mov_b32 v12, s0
	s_and_b64 s[6:7], s[0:1], s[6:7]
	s_mul_u64 s[6:7], s[6:7], 24
	s_wait_loadcnt 0x0
	v_add_nc_u64_e32 v[10:11], s[6:7], v[8:9]
	global_store_b64 v[10:11], v[14:15], off
	global_wb scope:SCOPE_SYS
	s_wait_storecnt 0x0
	s_wait_xcnt 0x0
	global_atomic_cmpswap_b64 v[8:9], v1, v[12:15], s[14:15] offset:24 th:TH_ATOMIC_RETURN scope:SCOPE_SYS
	s_wait_loadcnt 0x0
	v_cmp_ne_u64_e32 vcc_lo, v[8:9], v[14:15]
	s_and_b32 exec_lo, exec_lo, vcc_lo
	s_cbranch_execz .LBB3_2
; %bb.213:                              ;   in Loop: Header=BB3_3 Depth=1
	s_mov_b32 s5, 0
.LBB3_214:                              ;   Parent Loop BB3_3 Depth=1
                                        ; =>  This Inner Loop Header: Depth=2
	v_dual_mov_b32 v6, s0 :: v_dual_mov_b32 v7, s1
	s_sleep 1
	global_store_b64 v[10:11], v[8:9], off
	global_wb scope:SCOPE_SYS
	s_wait_storecnt 0x0
	s_wait_xcnt 0x0
	global_atomic_cmpswap_b64 v[6:7], v1, v[6:9], s[14:15] offset:24 th:TH_ATOMIC_RETURN scope:SCOPE_SYS
	s_wait_loadcnt 0x0
	v_cmp_eq_u64_e32 vcc_lo, v[6:7], v[8:9]
	v_mov_b64_e32 v[8:9], v[6:7]
	s_or_b32 s5, vcc_lo, s5
	s_delay_alu instid0(SALU_CYCLE_1)
	s_and_not1_b32 exec_lo, exec_lo, s5
	s_cbranch_execnz .LBB3_214
	s_branch .LBB3_2
.LBB3_215:
	s_endpgm
	.section	.rodata,"a",@progbits
	.p2align	6, 0x0
	.amdhsa_kernel _Z10vec_verifyIdEvPT_S0_i
		.amdhsa_group_segment_fixed_size 0
		.amdhsa_private_segment_fixed_size 0
		.amdhsa_kernarg_size 280
		.amdhsa_user_sgpr_count 2
		.amdhsa_user_sgpr_dispatch_ptr 0
		.amdhsa_user_sgpr_queue_ptr 0
		.amdhsa_user_sgpr_kernarg_segment_ptr 1
		.amdhsa_user_sgpr_dispatch_id 0
		.amdhsa_user_sgpr_kernarg_preload_length 0
		.amdhsa_user_sgpr_kernarg_preload_offset 0
		.amdhsa_user_sgpr_private_segment_size 0
		.amdhsa_wavefront_size32 1
		.amdhsa_uses_dynamic_stack 0
		.amdhsa_enable_private_segment 0
		.amdhsa_system_sgpr_workgroup_id_x 1
		.amdhsa_system_sgpr_workgroup_id_y 0
		.amdhsa_system_sgpr_workgroup_id_z 0
		.amdhsa_system_sgpr_workgroup_info 0
		.amdhsa_system_vgpr_workitem_id 0
		.amdhsa_next_free_vgpr 42
		.amdhsa_next_free_sgpr 32
		.amdhsa_named_barrier_count 0
		.amdhsa_reserve_vcc 1
		.amdhsa_float_round_mode_32 0
		.amdhsa_float_round_mode_16_64 0
		.amdhsa_float_denorm_mode_32 3
		.amdhsa_float_denorm_mode_16_64 3
		.amdhsa_fp16_overflow 0
		.amdhsa_memory_ordered 1
		.amdhsa_forward_progress 1
		.amdhsa_inst_pref_size 76
		.amdhsa_round_robin_scheduling 0
		.amdhsa_exception_fp_ieee_invalid_op 0
		.amdhsa_exception_fp_denorm_src 0
		.amdhsa_exception_fp_ieee_div_zero 0
		.amdhsa_exception_fp_ieee_overflow 0
		.amdhsa_exception_fp_ieee_underflow 0
		.amdhsa_exception_fp_ieee_inexact 0
		.amdhsa_exception_int_div_zero 0
	.end_amdhsa_kernel
	.section	.text._Z10vec_verifyIdEvPT_S0_i,"axG",@progbits,_Z10vec_verifyIdEvPT_S0_i,comdat
.Lfunc_end3:
	.size	_Z10vec_verifyIdEvPT_S0_i, .Lfunc_end3-_Z10vec_verifyIdEvPT_S0_i
                                        ; -- End function
	.set _Z10vec_verifyIdEvPT_S0_i.num_vgpr, 42
	.set _Z10vec_verifyIdEvPT_S0_i.num_agpr, 0
	.set _Z10vec_verifyIdEvPT_S0_i.numbered_sgpr, 32
	.set _Z10vec_verifyIdEvPT_S0_i.num_named_barrier, 0
	.set _Z10vec_verifyIdEvPT_S0_i.private_seg_size, 0
	.set _Z10vec_verifyIdEvPT_S0_i.uses_vcc, 1
	.set _Z10vec_verifyIdEvPT_S0_i.uses_flat_scratch, 0
	.set _Z10vec_verifyIdEvPT_S0_i.has_dyn_sized_stack, 0
	.set _Z10vec_verifyIdEvPT_S0_i.has_recursion, 0
	.set _Z10vec_verifyIdEvPT_S0_i.has_indirect_call, 0
	.section	.AMDGPU.csdata,"",@progbits
; Kernel info:
; codeLenInByte = 9624
; TotalNumSgprs: 34
; NumVgprs: 42
; ScratchSize: 0
; MemoryBound: 0
; FloatMode: 240
; IeeeMode: 1
; LDSByteSize: 0 bytes/workgroup (compile time only)
; SGPRBlocks: 0
; VGPRBlocks: 2
; NumSGPRsForWavesPerEU: 34
; NumVGPRsForWavesPerEU: 42
; NamedBarCnt: 0
; Occupancy: 16
; WaveLimiterHint : 1
; COMPUTE_PGM_RSRC2:SCRATCH_EN: 0
; COMPUTE_PGM_RSRC2:USER_SGPR: 2
; COMPUTE_PGM_RSRC2:TRAP_HANDLER: 0
; COMPUTE_PGM_RSRC2:TGID_X_EN: 1
; COMPUTE_PGM_RSRC2:TGID_Y_EN: 0
; COMPUTE_PGM_RSRC2:TGID_Z_EN: 0
; COMPUTE_PGM_RSRC2:TIDIG_COMP_CNT: 0
	.section	.AMDGPU.gpr_maximums,"",@progbits
	.set amdgpu.max_num_vgpr, 0
	.set amdgpu.max_num_agpr, 0
	.set amdgpu.max_num_sgpr, 0
	.section	.AMDGPU.csdata,"",@progbits
	.type	.str,@object                    ; @.str
	.section	.rodata.str1.1,"aMS",@progbits,1
.str:
	.asciz	"failed at %d: val=%g, expected=%g\n"
	.size	.str, 35

	.type	.str.1,@object                  ; @.str.1
.str.1:
	.asciz	"failed at %d: val=%d, expected=%d\n"
	.size	.str.1, 35

	.type	__hip_cuid_31ef4e7dd5c63747,@object ; @__hip_cuid_31ef4e7dd5c63747
	.section	.bss,"aw",@nobits
	.globl	__hip_cuid_31ef4e7dd5c63747
__hip_cuid_31ef4e7dd5c63747:
	.byte	0                               ; 0x0
	.size	__hip_cuid_31ef4e7dd5c63747, 1

	.ident	"AMD clang version 22.0.0git (https://github.com/RadeonOpenCompute/llvm-project roc-7.2.4 26084 f58b06dce1f9c15707c5f808fd002e18c2accf7e)"
	.section	".note.GNU-stack","",@progbits
	.addrsig
	.addrsig_sym __hip_cuid_31ef4e7dd5c63747
	.amdgpu_metadata
---
amdhsa.kernels:
  - .args:
      - .address_space:  global
        .offset:         0
        .size:           8
        .value_kind:     global_buffer
      - .offset:         8
        .size:           4
        .value_kind:     by_value
      - .offset:         12
        .size:           4
        .value_kind:     by_value
      - .offset:         16
        .size:           4
        .value_kind:     hidden_block_count_x
      - .offset:         20
        .size:           4
        .value_kind:     hidden_block_count_y
      - .offset:         24
        .size:           4
        .value_kind:     hidden_block_count_z
      - .offset:         28
        .size:           2
        .value_kind:     hidden_group_size_x
      - .offset:         30
        .size:           2
        .value_kind:     hidden_group_size_y
      - .offset:         32
        .size:           2
        .value_kind:     hidden_group_size_z
      - .offset:         34
        .size:           2
        .value_kind:     hidden_remainder_x
      - .offset:         36
        .size:           2
        .value_kind:     hidden_remainder_y
      - .offset:         38
        .size:           2
        .value_kind:     hidden_remainder_z
      - .offset:         56
        .size:           8
        .value_kind:     hidden_global_offset_x
      - .offset:         64
        .size:           8
        .value_kind:     hidden_global_offset_y
      - .offset:         72
        .size:           8
        .value_kind:     hidden_global_offset_z
      - .offset:         80
        .size:           2
        .value_kind:     hidden_grid_dims
    .group_segment_fixed_size: 0
    .kernarg_segment_align: 8
    .kernarg_segment_size: 272
    .language:       OpenCL C
    .language_version:
      - 2
      - 0
    .max_flat_workgroup_size: 1024
    .name:           _Z8vec_fillIiEvPT_S0_i
    .private_segment_fixed_size: 0
    .sgpr_count:     15
    .sgpr_spill_count: 0
    .symbol:         _Z8vec_fillIiEvPT_S0_i.kd
    .uniform_work_group_size: 1
    .uses_dynamic_stack: false
    .vgpr_count:     8
    .vgpr_spill_count: 0
    .wavefront_size: 32
  - .args:
      - .address_space:  global
        .offset:         0
        .size:           8
        .value_kind:     global_buffer
      - .offset:         8
        .size:           4
        .value_kind:     by_value
      - .offset:         12
        .size:           4
        .value_kind:     by_value
      - .offset:         16
        .size:           4
        .value_kind:     hidden_block_count_x
      - .offset:         20
        .size:           4
        .value_kind:     hidden_block_count_y
      - .offset:         24
        .size:           4
        .value_kind:     hidden_block_count_z
      - .offset:         28
        .size:           2
        .value_kind:     hidden_group_size_x
      - .offset:         30
        .size:           2
        .value_kind:     hidden_group_size_y
      - .offset:         32
        .size:           2
        .value_kind:     hidden_group_size_z
      - .offset:         34
        .size:           2
        .value_kind:     hidden_remainder_x
      - .offset:         36
        .size:           2
        .value_kind:     hidden_remainder_y
      - .offset:         38
        .size:           2
        .value_kind:     hidden_remainder_z
      - .offset:         56
        .size:           8
        .value_kind:     hidden_global_offset_x
      - .offset:         64
        .size:           8
        .value_kind:     hidden_global_offset_y
      - .offset:         72
        .size:           8
        .value_kind:     hidden_global_offset_z
      - .offset:         80
        .size:           2
        .value_kind:     hidden_grid_dims
      - .offset:         96
        .size:           8
        .value_kind:     hidden_hostcall_buffer
    .group_segment_fixed_size: 0
    .kernarg_segment_align: 8
    .kernarg_segment_size: 272
    .language:       OpenCL C
    .language_version:
      - 2
      - 0
    .max_flat_workgroup_size: 1024
    .name:           _Z10vec_verifyIiEvPT_S0_i
    .private_segment_fixed_size: 0
    .sgpr_count:     34
    .sgpr_spill_count: 0
    .symbol:         _Z10vec_verifyIiEvPT_S0_i.kd
    .uniform_work_group_size: 1
    .uses_dynamic_stack: false
    .vgpr_count:     42
    .vgpr_spill_count: 0
    .wavefront_size: 32
  - .args:
      - .address_space:  global
        .offset:         0
        .size:           8
        .value_kind:     global_buffer
      - .offset:         8
        .size:           8
        .value_kind:     by_value
      - .offset:         16
        .size:           4
        .value_kind:     by_value
      - .offset:         24
        .size:           4
        .value_kind:     hidden_block_count_x
      - .offset:         28
        .size:           4
        .value_kind:     hidden_block_count_y
      - .offset:         32
        .size:           4
        .value_kind:     hidden_block_count_z
      - .offset:         36
        .size:           2
        .value_kind:     hidden_group_size_x
      - .offset:         38
        .size:           2
        .value_kind:     hidden_group_size_y
      - .offset:         40
        .size:           2
        .value_kind:     hidden_group_size_z
      - .offset:         42
        .size:           2
        .value_kind:     hidden_remainder_x
      - .offset:         44
        .size:           2
        .value_kind:     hidden_remainder_y
      - .offset:         46
        .size:           2
        .value_kind:     hidden_remainder_z
      - .offset:         64
        .size:           8
        .value_kind:     hidden_global_offset_x
      - .offset:         72
        .size:           8
        .value_kind:     hidden_global_offset_y
      - .offset:         80
        .size:           8
        .value_kind:     hidden_global_offset_z
      - .offset:         88
        .size:           2
        .value_kind:     hidden_grid_dims
    .group_segment_fixed_size: 0
    .kernarg_segment_align: 8
    .kernarg_segment_size: 280
    .language:       OpenCL C
    .language_version:
      - 2
      - 0
    .max_flat_workgroup_size: 1024
    .name:           _Z8vec_fillIdEvPT_S0_i
    .private_segment_fixed_size: 0
    .sgpr_count:     14
    .sgpr_spill_count: 0
    .symbol:         _Z8vec_fillIdEvPT_S0_i.kd
    .uniform_work_group_size: 1
    .uses_dynamic_stack: false
    .vgpr_count:     6
    .vgpr_spill_count: 0
    .wavefront_size: 32
  - .args:
      - .address_space:  global
        .offset:         0
        .size:           8
        .value_kind:     global_buffer
      - .offset:         8
        .size:           8
        .value_kind:     by_value
      - .offset:         16
        .size:           4
        .value_kind:     by_value
      - .offset:         24
        .size:           4
        .value_kind:     hidden_block_count_x
      - .offset:         28
        .size:           4
        .value_kind:     hidden_block_count_y
      - .offset:         32
        .size:           4
        .value_kind:     hidden_block_count_z
      - .offset:         36
        .size:           2
        .value_kind:     hidden_group_size_x
      - .offset:         38
        .size:           2
        .value_kind:     hidden_group_size_y
      - .offset:         40
        .size:           2
        .value_kind:     hidden_group_size_z
      - .offset:         42
        .size:           2
        .value_kind:     hidden_remainder_x
      - .offset:         44
        .size:           2
        .value_kind:     hidden_remainder_y
      - .offset:         46
        .size:           2
        .value_kind:     hidden_remainder_z
      - .offset:         64
        .size:           8
        .value_kind:     hidden_global_offset_x
      - .offset:         72
        .size:           8
        .value_kind:     hidden_global_offset_y
      - .offset:         80
        .size:           8
        .value_kind:     hidden_global_offset_z
      - .offset:         88
        .size:           2
        .value_kind:     hidden_grid_dims
      - .offset:         104
        .size:           8
        .value_kind:     hidden_hostcall_buffer
    .group_segment_fixed_size: 0
    .kernarg_segment_align: 8
    .kernarg_segment_size: 280
    .language:       OpenCL C
    .language_version:
      - 2
      - 0
    .max_flat_workgroup_size: 1024
    .name:           _Z10vec_verifyIdEvPT_S0_i
    .private_segment_fixed_size: 0
    .sgpr_count:     34
    .sgpr_spill_count: 0
    .symbol:         _Z10vec_verifyIdEvPT_S0_i.kd
    .uniform_work_group_size: 1
    .uses_dynamic_stack: false
    .vgpr_count:     42
    .vgpr_spill_count: 0
    .wavefront_size: 32
amdhsa.target:   amdgcn-amd-amdhsa--gfx1250
amdhsa.version:
  - 1
  - 2
...

	.end_amdgpu_metadata
